;; amdgpu-corpus repo=ROCm/rocFFT kind=compiled arch=gfx950 opt=O3
	.text
	.amdgcn_target "amdgcn-amd-amdhsa--gfx950"
	.amdhsa_code_object_version 6
	.protected	bluestein_single_back_len255_dim1_dp_op_CI_CI ; -- Begin function bluestein_single_back_len255_dim1_dp_op_CI_CI
	.globl	bluestein_single_back_len255_dim1_dp_op_CI_CI
	.p2align	8
	.type	bluestein_single_back_len255_dim1_dp_op_CI_CI,@function
bluestein_single_back_len255_dim1_dp_op_CI_CI: ; @bluestein_single_back_len255_dim1_dp_op_CI_CI
; %bb.0:
	s_load_dwordx4 s[8:11], s[0:1], 0x28
	v_mul_u32_u24_e32 v1, 0xf10, v0
	v_lshrrev_b32_e32 v2, 16, v1
	v_mad_u64_u32 v[248:249], s[2:3], s2, 3, v[2:3]
	v_mov_b32_e32 v195, 0
	v_mov_b32_e32 v249, v195
	s_waitcnt lgkmcnt(0)
	v_cmp_gt_u64_e32 vcc, s[8:9], v[248:249]
	s_and_saveexec_b64 s[2:3], vcc
	s_cbranch_execz .LBB0_15
; %bb.1:
	v_mul_lo_u16_e32 v1, 17, v2
	s_mov_b32 s4, 0xaaaaaaab
	v_sub_u16_e32 v194, v0, v1
	v_mul_hi_u32 v0, v248, s4
	s_load_dwordx2 s[2:3], s[0:1], 0x0
	s_load_dwordx2 s[8:9], s[0:1], 0x38
	v_lshrrev_b32_e32 v0, 1, v0
	v_lshl_add_u32 v0, v0, 1, v0
	v_sub_u32_e32 v0, v248, v0
	v_mul_u32_u24_e32 v193, 0xff, v0
	v_cmp_gt_u16_e32 vcc, 15, v194
	v_lshlrev_b32_e32 v192, 4, v194
	v_lshlrev_b32_e32 v249, 4, v193
	s_and_saveexec_b64 s[12:13], vcc
	s_cbranch_execz .LBB0_3
; %bb.2:
	s_load_dwordx2 s[4:5], s[0:1], 0x18
	v_mov_b32_e32 v0, s10
	v_mov_b32_e32 v1, s11
	;; [unrolled: 1-line block ×3, first 2 shown]
	v_or_b32_e32 v57, 0xf0, v194
	s_waitcnt lgkmcnt(0)
	s_load_dwordx4 s[4:7], s[4:5], 0x0
	v_lshl_add_u32 v142, v194, 4, v249
	s_waitcnt lgkmcnt(0)
	v_mad_u64_u32 v[2:3], s[10:11], s6, v248, 0
	v_mad_u64_u32 v[4:5], s[10:11], s4, v194, 0
	v_mov_b32_e32 v6, v3
	v_mov_b32_e32 v8, v5
	v_mad_u64_u32 v[6:7], s[6:7], s7, v248, v[6:7]
	v_mov_b32_e32 v3, v6
	v_mad_u64_u32 v[6:7], s[6:7], s5, v194, v[8:9]
	v_mov_b32_e32 v5, v6
	v_lshl_add_u64 v[52:53], v[2:3], 4, v[0:1]
	v_lshl_add_u64 v[4:5], v[4:5], 4, v[52:53]
	v_mad_u64_u32 v[20:21], s[6:7], s4, v56, v[4:5]
	s_mul_i32 s6, s5, 0xf0
	s_nop 0
	v_add_u32_e32 v21, s6, v21
	global_load_dwordx4 v[0:3], v[4:5], off
	v_mad_u64_u32 v[54:55], s[10:11], s4, v56, v[20:21]
	global_load_dwordx4 v[4:7], v192, s[2:3]
	global_load_dwordx4 v[8:11], v192, s[2:3] offset:240
	v_add_u32_e32 v55, s6, v55
	global_load_dwordx4 v[16:19], v[20:21], off
	global_load_dwordx4 v[12:15], v[54:55], off
	v_mad_u64_u32 v[54:55], s[10:11], s4, v56, v[54:55]
	v_add_u32_e32 v55, s6, v55
	global_load_dwordx4 v[20:23], v192, s[2:3] offset:480
	global_load_dwordx4 v[24:27], v192, s[2:3] offset:720
	;; [unrolled: 1-line block ×8, first 2 shown]
	global_load_dwordx4 v[58:61], v[54:55], off
	global_load_dwordx4 v[62:65], v192, s[2:3] offset:2400
	global_load_dwordx4 v[66:69], v192, s[2:3] offset:2640
	v_mad_u64_u32 v[54:55], s[10:11], s4, v56, v[54:55]
	v_add_u32_e32 v55, s6, v55
	global_load_dwordx4 v[70:73], v[54:55], off
	v_mad_u64_u32 v[54:55], s[10:11], s4, v56, v[54:55]
	v_add_u32_e32 v55, s6, v55
	global_load_dwordx4 v[74:77], v[54:55], off
	;; [unrolled: 3-line block ×5, first 2 shown]
	v_mad_u64_u32 v[54:55], s[10:11], s4, v56, v[54:55]
	v_add_u32_e32 v55, s6, v55
	v_mad_u64_u32 v[130:131], s[10:11], s4, v57, 0
	global_load_dwordx4 v[90:93], v[54:55], off
	v_mad_u64_u32 v[54:55], s[10:11], s4, v56, v[54:55]
	v_mov_b32_e32 v94, v131
	v_add_u32_e32 v55, s6, v55
	v_mad_u64_u32 v[98:99], s[10:11], s5, v57, v[94:95]
	global_load_dwordx4 v[94:97], v[54:55], off
	v_mad_u64_u32 v[54:55], s[10:11], s4, v56, v[54:55]
	v_add_u32_e32 v55, s6, v55
	v_mov_b32_e32 v131, v98
	global_load_dwordx4 v[98:101], v[54:55], off
	v_mad_u64_u32 v[54:55], s[10:11], s4, v56, v[54:55]
	v_add_u32_e32 v55, s6, v55
	global_load_dwordx4 v[102:105], v[54:55], off
	global_load_dwordx4 v[106:109], v192, s[2:3] offset:2880
	v_mad_u64_u32 v[54:55], s[10:11], s4, v56, v[54:55]
	v_add_u32_e32 v55, s6, v55
	global_load_dwordx4 v[110:113], v[54:55], off
	global_load_dwordx4 v[114:117], v192, s[2:3] offset:3120
	;; [unrolled: 4-line block ×3, first 2 shown]
	v_mad_u64_u32 v[54:55], s[4:5], s4, v56, v[54:55]
	v_add_u32_e32 v55, s6, v55
	global_load_dwordx4 v[54:57], v[54:55], off
	s_nop 0
	global_load_dwordx4 v[126:129], v192, s[2:3] offset:3600
	v_lshl_add_u64 v[52:53], v[130:131], 4, v[52:53]
	global_load_dwordx4 v[130:133], v[52:53], off
	global_load_dwordx4 v[138:141], v192, s[2:3] offset:3840
	s_waitcnt vmcnt(32)
	v_mul_f64 v[134:135], v[2:3], v[6:7]
	v_mul_f64 v[6:7], v[0:1], v[6:7]
	v_fmac_f64_e32 v[134:135], v[0:1], v[4:5]
	v_fma_f64 v[136:137], v[2:3], v[4:5], -v[6:7]
	s_waitcnt vmcnt(30)
	v_mul_f64 v[0:1], v[18:19], v[10:11]
	v_mul_f64 v[2:3], v[16:17], v[10:11]
	v_fmac_f64_e32 v[0:1], v[16:17], v[8:9]
	v_fma_f64 v[2:3], v[18:19], v[8:9], -v[2:3]
	s_waitcnt vmcnt(28)
	v_mul_f64 v[4:5], v[14:15], v[22:23]
	v_mul_f64 v[6:7], v[12:13], v[22:23]
	v_add_u32_e32 v8, v249, v192
	ds_write_b128 v142, v[134:137]
	v_fmac_f64_e32 v[4:5], v[12:13], v[20:21]
	v_fma_f64 v[6:7], v[14:15], v[20:21], -v[6:7]
	ds_write_b128 v8, v[0:3] offset:240
	ds_write_b128 v8, v[4:7] offset:480
	s_waitcnt vmcnt(20)
	v_mul_f64 v[0:1], v[58:59], v[26:27]
	v_fma_f64 v[2:3], v[60:61], v[24:25], -v[0:1]
	v_mul_f64 v[0:1], v[60:61], v[26:27]
	v_fmac_f64_e32 v[0:1], v[58:59], v[24:25]
	ds_write_b128 v8, v[0:3] offset:720
	s_waitcnt vmcnt(17)
	v_mul_f64 v[0:1], v[72:73], v[30:31]
	v_mul_f64 v[2:3], v[70:71], v[30:31]
	v_fmac_f64_e32 v[0:1], v[70:71], v[28:29]
	v_fma_f64 v[2:3], v[72:73], v[28:29], -v[2:3]
	ds_write_b128 v8, v[0:3] offset:960
	s_waitcnt vmcnt(16)
	v_mul_f64 v[0:1], v[76:77], v[34:35]
	v_mul_f64 v[2:3], v[74:75], v[34:35]
	v_fmac_f64_e32 v[0:1], v[74:75], v[32:33]
	v_fma_f64 v[2:3], v[76:77], v[32:33], -v[2:3]
	;; [unrolled: 6-line block ×13, first 2 shown]
	ds_write_b128 v8, v[0:3] offset:3840
.LBB0_3:
	s_or_b64 exec, exec, s[12:13]
	s_load_dwordx2 s[4:5], s[0:1], 0x20
	s_load_dwordx2 s[10:11], s[0:1], 0x8
	s_waitcnt lgkmcnt(0)
	; wave barrier
	s_waitcnt lgkmcnt(0)
                                        ; implicit-def: $vgpr8_vgpr9
                                        ; implicit-def: $vgpr12_vgpr13
                                        ; implicit-def: $vgpr16_vgpr17
                                        ; implicit-def: $vgpr20_vgpr21
                                        ; implicit-def: $vgpr24_vgpr25
                                        ; implicit-def: $vgpr28_vgpr29
                                        ; implicit-def: $vgpr32_vgpr33
                                        ; implicit-def: $vgpr36_vgpr37
                                        ; implicit-def: $vgpr40_vgpr41
                                        ; implicit-def: $vgpr44_vgpr45
                                        ; implicit-def: $vgpr48_vgpr49
                                        ; implicit-def: $vgpr52_vgpr53
                                        ; implicit-def: $vgpr56_vgpr57
                                        ; implicit-def: $vgpr60_vgpr61
                                        ; implicit-def: $vgpr64_vgpr65
                                        ; implicit-def: $vgpr68_vgpr69
                                        ; implicit-def: $vgpr72_vgpr73
	s_and_saveexec_b64 s[0:1], vcc
	s_cbranch_execz .LBB0_5
; %bb.4:
	v_lshlrev_b32_e32 v0, 4, v194
	v_lshl_add_u32 v0, v193, 4, v0
	ds_read_b128 v[8:11], v0
	ds_read_b128 v[12:15], v0 offset:240
	ds_read_b128 v[16:19], v0 offset:480
	;; [unrolled: 1-line block ×16, first 2 shown]
.LBB0_5:
	s_or_b64 exec, exec, s[0:1]
	s_mov_b32 s18, 0x5d8e7cdc
	s_waitcnt lgkmcnt(0)
	v_add_f64 v[116:117], v[14:15], -v[74:75]
	s_mov_b32 s0, 0x370991
	s_mov_b32 s19, 0xbfd71e95
	;; [unrolled: 1-line block ×3, first 2 shown]
	v_add_f64 v[138:139], v[12:13], v[72:73]
	v_add_f64 v[146:147], v[12:13], -v[72:73]
	s_mov_b32 s1, 0x3fedd6d0
	v_mul_f64 v[78:79], v[116:117], s[18:19]
	s_mov_b32 s6, 0x75d4884
	s_mov_b32 s35, 0xbfe58eea
	v_add_f64 v[118:119], v[18:19], -v[70:71]
	v_add_f64 v[144:145], v[14:15], v[74:75]
	v_mul_f64 v[80:81], v[146:147], s[18:19]
	v_fma_f64 v[0:1], s[0:1], v[138:139], v[78:79]
	s_mov_b32 s7, 0x3fe7a5f6
	v_add_f64 v[152:153], v[16:17], v[68:69]
	v_add_f64 v[168:169], v[16:17], -v[68:69]
	v_mul_f64 v[82:83], v[118:119], s[34:35]
	s_mov_b32 s28, 0x7c9e640b
	v_add_f64 v[0:1], v[8:9], v[0:1]
	v_fma_f64 v[2:3], v[144:145], s[0:1], -v[80:81]
	v_add_f64 v[154:155], v[18:19], v[70:71]
	v_mul_f64 v[84:85], v[168:169], s[34:35]
	v_fma_f64 v[4:5], s[6:7], v[152:153], v[82:83]
	v_add_f64 v[206:207], v[22:23], -v[66:67]
	s_mov_b32 s12, 0x2b2883cd
	s_mov_b32 s29, 0xbfeca52d
	v_add_f64 v[2:3], v[10:11], v[2:3]
	v_add_f64 v[0:1], v[4:5], v[0:1]
	v_fma_f64 v[4:5], v[154:155], s[6:7], -v[84:85]
	s_mov_b32 s24, 0xeb564b22
	v_add_f64 v[156:157], v[20:21], v[64:65]
	v_add_f64 v[176:177], v[20:21], -v[64:65]
	s_mov_b32 s13, 0x3fdc86fa
	v_mul_f64 v[86:87], v[206:207], s[28:29]
	v_add_f64 v[2:3], v[4:5], v[2:3]
	s_mov_b32 s16, 0x3259b75e
	s_mov_b32 s25, 0xbfefdd0d
	v_add_f64 v[158:159], v[22:23], v[66:67]
	v_mul_f64 v[88:89], v[176:177], s[28:29]
	v_fma_f64 v[4:5], s[12:13], v[156:157], v[86:87]
	v_add_f64 v[224:225], v[26:27], -v[62:63]
	s_mov_b32 s17, 0x3fb79ee6
	v_add_f64 v[0:1], v[4:5], v[0:1]
	v_fma_f64 v[4:5], v[158:159], s[12:13], -v[88:89]
	v_add_f64 v[160:161], v[24:25], v[60:61]
	v_add_f64 v[208:209], v[24:25], -v[60:61]
	v_mul_f64 v[132:133], v[224:225], s[24:25]
	s_mov_b32 s38, 0x923c349f
	v_add_f64 v[2:3], v[4:5], v[2:3]
	v_add_f64 v[162:163], v[26:27], v[62:63]
	v_mul_f64 v[134:135], v[208:209], s[24:25]
	v_fma_f64 v[4:5], s[16:17], v[160:161], v[132:133]
	v_add_f64 v[232:233], v[30:31], -v[58:59]
	s_mov_b32 s20, 0xc61f0d01
	s_mov_b32 s39, 0xbfeec746
	v_add_f64 v[0:1], v[4:5], v[0:1]
	v_fma_f64 v[4:5], v[162:163], s[16:17], -v[134:135]
	v_add_f64 v[170:171], v[28:29], v[56:57]
	s_mov_b32 s21, 0xbfd183b1
	v_mul_f64 v[136:137], v[232:233], s[38:39]
	v_add_f64 v[228:229], v[28:29], -v[56:57]
	s_mov_b32 s36, 0x6c9a05f6
	v_add_f64 v[2:3], v[4:5], v[2:3]
	v_fma_f64 v[4:5], s[20:21], v[170:171], v[136:137]
	v_add_f64 v[174:175], v[30:31], v[58:59]
	v_mul_f64 v[140:141], v[228:229], s[38:39]
	s_mov_b32 s22, 0x6ed5f1bb
	s_mov_b32 s37, 0xbfe9895b
	v_add_f64 v[238:239], v[34:35], -v[54:55]
	v_add_f64 v[0:1], v[4:5], v[0:1]
	v_fma_f64 v[4:5], v[174:175], s[20:21], -v[140:141]
	s_mov_b32 s23, 0xbfe348c8
	v_add_f64 v[178:179], v[32:33], v[52:53]
	v_mul_f64 v[142:143], v[238:239], s[36:37]
	v_add_f64 v[2:3], v[4:5], v[2:3]
	v_fma_f64 v[4:5], s[22:23], v[178:179], v[142:143]
	v_add_f64 v[236:237], v[32:33], -v[52:53]
	v_add_f64 v[4:5], v[4:5], v[0:1]
	v_add_f64 v[184:185], v[34:35], v[54:55]
	v_mul_f64 v[0:1], v[236:237], s[36:37]
	s_mov_b32 s40, 0x4363dd80
	v_fma_f64 v[6:7], v[184:185], s[22:23], -v[0:1]
	s_mov_b32 s26, 0x910ea3b9
	s_mov_b32 s41, 0x3fe0d888
	;; [unrolled: 1-line block ×4, first 2 shown]
	v_add_f64 v[242:243], v[38:39], -v[50:51]
	v_add_f64 v[6:7], v[6:7], v[2:3]
	s_mov_b32 s27, 0xbfeb34fa
	v_add_f64 v[186:187], v[36:37], v[48:49]
	v_mul_f64 v[2:3], v[242:243], s[42:43]
	v_add_f64 v[240:241], v[36:37], -v[48:49]
	s_mov_b32 s46, 0xacd6c6b4
	v_fma_f64 v[76:77], s[26:27], v[186:187], v[2:3]
	v_add_f64 v[188:189], v[38:39], v[50:51]
	v_mul_f64 v[164:165], v[240:241], s[42:43]
	s_mov_b32 s30, 0x7faef3
	s_mov_b32 s47, 0xbfc7851a
	v_add_f64 v[246:247], v[42:43], -v[46:47]
	v_add_f64 v[4:5], v[76:77], v[4:5]
	v_fma_f64 v[76:77], v[188:189], s[26:27], -v[164:165]
	s_mov_b32 s31, 0xbfef7484
	v_add_f64 v[200:201], v[40:41], v[44:45]
	v_mul_f64 v[166:167], v[246:247], s[46:47]
	v_add_f64 v[244:245], v[40:41], -v[44:45]
	v_add_f64 v[6:7], v[76:77], v[6:7]
	v_fma_f64 v[76:77], s[30:31], v[200:201], v[166:167]
	v_add_f64 v[210:211], v[42:43], v[46:47]
	v_mul_f64 v[172:173], v[244:245], s[46:47]
	v_add_f64 v[250:251], v[76:77], v[4:5]
	v_fma_f64 v[4:5], v[210:211], s[30:31], -v[172:173]
	v_mul_f64 v[180:181], v[116:117], s[34:35]
	v_add_f64 v[252:253], v[4:5], v[6:7]
	v_fma_f64 v[4:5], s[6:7], v[138:139], v[180:181]
	v_mul_f64 v[182:183], v[118:119], s[24:25]
	v_add_f64 v[4:5], v[8:9], v[4:5]
	v_fma_f64 v[6:7], s[16:17], v[152:153], v[182:183]
	v_mul_f64 v[198:199], v[146:147], s[34:35]
	v_add_f64 v[4:5], v[6:7], v[4:5]
	v_fma_f64 v[6:7], v[144:145], s[6:7], -v[198:199]
	v_mul_f64 v[202:203], v[168:169], s[24:25]
	v_add_f64 v[6:7], v[10:11], v[6:7]
	v_fma_f64 v[76:77], v[154:155], s[16:17], -v[202:203]
	v_mul_f64 v[190:191], v[206:207], s[36:37]
	v_add_f64 v[6:7], v[76:77], v[6:7]
	v_fma_f64 v[76:77], s[22:23], v[156:157], v[190:191]
	v_mul_f64 v[212:213], v[176:177], s[36:37]
	v_add_f64 v[4:5], v[76:77], v[4:5]
	v_fma_f64 v[76:77], v[158:159], s[22:23], -v[212:213]
	v_mul_f64 v[196:197], v[224:225], s[46:47]
	v_add_f64 v[6:7], v[76:77], v[6:7]
	v_fma_f64 v[76:77], s[30:31], v[160:161], v[196:197]
	;; [unrolled: 6-line block ×3, first 2 shown]
	v_mul_f64 v[220:221], v[228:229], s[40:41]
	s_mov_b32 s45, 0x3feec746
	s_mov_b32 s44, s38
	v_add_f64 v[4:5], v[76:77], v[4:5]
	v_fma_f64 v[76:77], v[174:175], s[26:27], -v[220:221]
	v_mul_f64 v[214:215], v[238:239], s[44:45]
	v_add_f64 v[6:7], v[76:77], v[6:7]
	v_fma_f64 v[76:77], s[20:21], v[178:179], v[214:215]
	v_mul_f64 v[226:227], v[236:237], s[44:45]
	s_mov_b32 s51, 0x3feca52d
	s_mov_b32 s50, s28
	v_add_f64 v[4:5], v[76:77], v[4:5]
	v_fma_f64 v[76:77], v[184:185], s[20:21], -v[226:227]
	v_mul_f64 v[218:219], v[242:243], s[50:51]
	v_add_f64 v[6:7], v[76:77], v[6:7]
	v_fma_f64 v[76:77], s[12:13], v[186:187], v[218:219]
	;; [unrolled: 8-line block ×3, first 2 shown]
	v_mul_f64 v[234:235], v[244:245], s[48:49]
	v_add_f64 v[4:5], v[76:77], v[4:5]
	v_fma_f64 v[76:77], v[210:211], s[0:1], -v[234:235]
	v_add_f64 v[6:7], v[76:77], v[6:7]
	v_accvgpr_write_b32 a4, v4
	v_accvgpr_write_b32 a5, v5
	;; [unrolled: 1-line block ×4, first 2 shown]
	s_waitcnt lgkmcnt(0)
	; wave barrier
	s_and_saveexec_b64 s[14:15], vcc
	s_cbranch_execz .LBB0_7
; %bb.6:
	v_mul_f64 v[104:105], v[144:145], s[30:31]
	s_mov_b32 s53, 0x3fc7851a
	s_mov_b32 s52, s46
	v_mul_f64 v[100:101], v[154:155], s[0:1]
	v_fma_f64 v[106:107], s[52:53], v[146:147], v[104:105]
	v_mul_f64 v[114:115], v[116:117], s[46:47]
	v_mul_f64 v[96:97], v[158:159], s[26:27]
	v_fma_f64 v[102:103], s[18:19], v[168:169], v[100:101]
	v_add_f64 v[106:107], v[10:11], v[106:107]
	v_mul_f64 v[110:111], v[118:119], s[48:49]
	v_fma_f64 v[148:149], s[30:31], v[138:139], v[114:115]
	v_accvgpr_write_b32 a22, v88
	v_mul_f64 v[92:93], v[162:163], s[6:7]
	v_fma_f64 v[98:99], s[40:41], v[176:177], v[96:97]
	v_add_f64 v[102:103], v[102:103], v[106:107]
	s_mov_b32 s55, 0x3fe58eea
	s_mov_b32 s54, s34
	v_mul_f64 v[108:109], v[206:207], s[42:43]
	v_fma_f64 v[112:113], s[0:1], v[152:153], v[110:111]
	v_add_f64 v[148:149], v[8:9], v[148:149]
	v_accvgpr_write_b32 a20, v84
	v_accvgpr_write_b32 a23, v89
	v_mul_f64 v[88:89], v[174:175], s[22:23]
	s_mov_b32 s57, 0x3fe9895b
	s_mov_b32 s56, s36
	v_fma_f64 v[94:95], s[34:35], v[208:209], v[92:93]
	v_add_f64 v[98:99], v[98:99], v[102:103]
	v_mul_f64 v[106:107], v[224:225], s[54:55]
	v_add_f64 v[112:113], v[112:113], v[148:149]
	v_fma_f64 v[148:149], s[26:27], v[156:157], v[108:109]
	v_accvgpr_write_b32 a14, v82
	v_accvgpr_write_b32 a21, v85
	v_mul_f64 v[84:85], v[184:185], s[12:13]
	v_accvgpr_write_b32 a16, v86
	v_fma_f64 v[90:91], s[56:57], v[228:229], v[88:89]
	v_add_f64 v[94:95], v[94:95], v[98:99]
	v_mul_f64 v[102:103], v[232:233], s[36:37]
	v_add_f64 v[112:113], v[148:149], v[112:113]
	v_fma_f64 v[148:149], s[6:7], v[160:161], v[106:107]
	v_accvgpr_write_b32 a18, v80
	v_accvgpr_write_b32 a15, v83
	v_mul_f64 v[82:83], v[188:189], s[20:21]
	v_accvgpr_write_b32 a12, v78
	v_accvgpr_write_b32 a17, v87
	v_fma_f64 v[86:87], s[28:29], v[236:237], v[84:85]
	v_add_f64 v[90:91], v[90:91], v[94:95]
	v_mul_f64 v[98:99], v[238:239], s[50:51]
	v_add_f64 v[112:113], v[148:149], v[112:113]
	v_fma_f64 v[148:149], s[22:23], v[170:171], v[102:103]
	v_accvgpr_write_b32 a19, v81
	v_mul_f64 v[80:81], v[210:211], s[16:17]
	v_accvgpr_write_b32 a13, v79
	v_fma_f64 v[78:79], s[44:45], v[240:241], v[82:83]
	v_add_f64 v[86:87], v[86:87], v[90:91]
	s_mov_b32 s59, 0x3fefdd0d
	s_mov_b32 s58, s24
	v_mul_f64 v[90:91], v[242:243], s[38:39]
	v_add_f64 v[112:113], v[148:149], v[112:113]
	v_fma_f64 v[148:149], s[12:13], v[178:179], v[98:99]
	v_fma_f64 v[76:77], s[24:25], v[244:245], v[80:81]
	v_add_f64 v[78:79], v[78:79], v[86:87]
	v_mul_f64 v[86:87], v[246:247], s[58:59]
	v_fma_f64 v[94:95], s[20:21], v[186:187], v[90:91]
	v_add_f64 v[112:113], v[148:149], v[112:113]
	v_add_f64 v[6:7], v[76:77], v[78:79]
	v_fma_f64 v[76:77], s[16:17], v[200:201], v[86:87]
	v_add_f64 v[94:95], v[94:95], v[112:113]
	v_fmac_f64_e32 v[104:105], s[46:47], v[146:147]
	v_add_f64 v[4:5], v[76:77], v[94:95]
	v_fmac_f64_e32 v[100:101], s[48:49], v[168:169]
	;; [unrolled: 2-line block ×6, first 2 shown]
	v_add_f64 v[88:89], v[88:89], v[92:93]
	v_fma_f64 v[96:97], v[138:139], s[30:31], -v[114:115]
	v_fmac_f64_e32 v[82:83], s[38:39], v[240:241]
	v_add_f64 v[84:85], v[84:85], v[88:89]
	v_fma_f64 v[94:95], v[152:153], s[0:1], -v[110:111]
	v_add_f64 v[96:97], v[8:9], v[96:97]
	v_mul_f64 v[110:111], v[144:145], s[26:27]
	v_add_f64 v[82:83], v[82:83], v[84:85]
	v_fma_f64 v[84:85], v[186:187], s[20:21], -v[90:91]
	v_fma_f64 v[90:91], v[160:161], s[6:7], -v[106:107]
	;; [unrolled: 1-line block ×3, first 2 shown]
	v_add_f64 v[94:95], v[94:95], v[96:97]
	v_mul_f64 v[106:107], v[154:155], s[12:13]
	v_fma_f64 v[112:113], s[40:41], v[146:147], v[110:111]
	v_fmac_f64_e32 v[80:81], s[58:59], v[244:245]
	v_fma_f64 v[88:89], v[170:171], s[22:23], -v[102:103]
	v_add_f64 v[92:93], v[92:93], v[94:95]
	v_mul_f64 v[102:103], v[158:159], s[16:17]
	v_fma_f64 v[108:109], s[28:29], v[168:169], v[106:107]
	v_add_f64 v[112:113], v[10:11], v[112:113]
	v_add_f64 v[82:83], v[80:81], v[82:83]
	v_fma_f64 v[80:81], v[200:201], s[16:17], -v[86:87]
	v_fma_f64 v[86:87], v[178:179], s[12:13], -v[98:99]
	v_add_f64 v[90:91], v[90:91], v[92:93]
	v_mul_f64 v[98:99], v[162:163], s[22:23]
	v_fma_f64 v[104:105], s[58:59], v[176:177], v[102:103]
	v_add_f64 v[108:109], v[108:109], v[112:113]
	v_add_f64 v[88:89], v[88:89], v[90:91]
	v_mul_f64 v[94:95], v[174:175], s[0:1]
	v_fma_f64 v[100:101], s[36:37], v[208:209], v[98:99]
	v_add_f64 v[104:105], v[104:105], v[108:109]
	;; [unrolled: 4-line block ×4, first 2 shown]
	v_mul_f64 v[148:149], v[116:117], s[42:43]
	v_add_f64 v[80:81], v[80:81], v[84:85]
	v_fma_f64 v[84:85], s[34:35], v[240:241], v[90:91]
	v_add_f64 v[86:87], v[86:87], v[96:97]
	v_mul_f64 v[114:115], v[118:119], s[50:51]
	v_fma_f64 v[150:151], s[26:27], v[138:139], v[148:149]
	v_fmac_f64_e32 v[110:111], s[42:43], v[146:147]
	v_add_f64 v[84:85], v[84:85], v[86:87]
	v_mul_f64 v[112:113], v[206:207], s[24:25]
	v_fma_f64 v[86:87], s[12:13], v[152:153], v[114:115]
	v_add_f64 v[150:151], v[8:9], v[150:151]
	v_fmac_f64_e32 v[106:107], s[50:51], v[168:169]
	v_add_f64 v[110:111], v[10:11], v[110:111]
	v_mul_f64 v[108:109], v[224:225], s[56:57]
	v_add_f64 v[86:87], v[86:87], v[150:151]
	v_fma_f64 v[150:151], s[16:17], v[156:157], v[112:113]
	v_fmac_f64_e32 v[102:103], s[24:25], v[176:177]
	v_add_f64 v[106:107], v[106:107], v[110:111]
	v_mul_f64 v[104:105], v[232:233], s[18:19]
	v_add_f64 v[86:87], v[150:151], v[86:87]
	v_fma_f64 v[150:151], s[22:23], v[160:161], v[108:109]
	;; [unrolled: 5-line block ×4, first 2 shown]
	v_fmac_f64_e32 v[92:93], s[46:47], v[236:237]
	v_add_f64 v[94:95], v[94:95], v[98:99]
	v_accvgpr_write_b32 a11, v7
	v_mul_f64 v[88:89], v[210:211], s[20:21]
	v_add_f64 v[86:87], v[150:151], v[86:87]
	v_fma_f64 v[150:151], s[6:7], v[186:187], v[96:97]
	v_fmac_f64_e32 v[90:91], s[54:55], v[240:241]
	v_add_f64 v[92:93], v[92:93], v[94:95]
	v_accvgpr_write_b32 a10, v6
	v_accvgpr_write_b32 a9, v5
	;; [unrolled: 1-line block ×3, first 2 shown]
	v_add_f64 v[150:151], v[150:151], v[86:87]
	v_fma_f64 v[86:87], s[44:45], v[244:245], v[88:89]
	v_mov_b32_e32 v4, v192
	v_mov_b32_e32 v5, v193
	v_mul_f64 v[192:193], v[246:247], s[38:39]
	v_add_f64 v[90:91], v[90:91], v[92:93]
	v_fma_f64 v[92:93], v[186:187], s[6:7], -v[96:97]
	v_fma_f64 v[96:97], v[170:171], s[0:1], -v[104:105]
	;; [unrolled: 1-line block ×3, first 2 shown]
	v_add_f64 v[86:87], v[86:87], v[84:85]
	v_fma_f64 v[84:85], s[20:21], v[200:201], v[192:193]
	v_fma_f64 v[102:103], v[152:153], s[12:13], -v[114:115]
	v_add_f64 v[104:105], v[8:9], v[104:105]
	v_mul_f64 v[148:149], v[144:145], s[22:23]
	v_add_f64 v[84:85], v[84:85], v[150:151]
	v_fma_f64 v[94:95], v[178:179], s[30:31], -v[100:101]
	v_fma_f64 v[100:101], v[156:157], s[16:17], -v[112:113]
	v_add_f64 v[102:103], v[102:103], v[104:105]
	v_mul_f64 v[112:113], v[154:155], s[20:21]
	v_fma_f64 v[150:151], s[56:57], v[146:147], v[148:149]
	v_fma_f64 v[98:99], v[160:161], s[22:23], -v[108:109]
	v_add_f64 v[100:101], v[100:101], v[102:103]
	v_mul_f64 v[108:109], v[158:159], s[0:1]
	v_fma_f64 v[114:115], s[38:39], v[168:169], v[112:113]
	v_add_f64 v[150:151], v[10:11], v[150:151]
	v_add_f64 v[98:99], v[98:99], v[100:101]
	v_mul_f64 v[104:105], v[162:163], s[26:27]
	v_fma_f64 v[110:111], s[48:49], v[176:177], v[108:109]
	v_add_f64 v[114:115], v[114:115], v[150:151]
	;; [unrolled: 4-line block ×3, first 2 shown]
	v_fmac_f64_e32 v[88:89], s[38:39], v[244:245]
	v_add_f64 v[94:95], v[94:95], v[96:97]
	v_mul_f64 v[98:99], v[184:185], s[6:7]
	v_fma_f64 v[102:103], s[24:25], v[228:229], v[100:101]
	v_add_f64 v[106:107], v[106:107], v[110:111]
	v_add_f64 v[90:91], v[88:89], v[90:91]
	v_fma_f64 v[88:89], v[200:201], s[20:21], -v[192:193]
	v_add_f64 v[92:93], v[92:93], v[94:95]
	v_mul_f64 v[96:97], v[188:189], s[30:31]
	v_fma_f64 v[94:95], s[54:55], v[236:237], v[98:99]
	v_add_f64 v[102:103], v[102:103], v[106:107]
	v_mul_f64 v[114:115], v[116:117], s[36:37]
	v_add_f64 v[88:89], v[88:89], v[92:93]
	v_fma_f64 v[92:93], s[52:53], v[240:241], v[96:97]
	v_add_f64 v[94:95], v[94:95], v[102:103]
	v_mul_f64 v[110:111], v[118:119], s[44:45]
	v_fma_f64 v[150:151], s[22:23], v[138:139], v[114:115]
	v_fmac_f64_e32 v[148:149], s[36:37], v[146:147]
	v_add_f64 v[92:93], v[92:93], v[94:95]
	v_mul_f64 v[106:107], v[206:207], s[18:19]
	v_fma_f64 v[94:95], s[20:21], v[152:153], v[110:111]
	v_add_f64 v[150:151], v[8:9], v[150:151]
	v_fmac_f64_e32 v[112:113], s[44:45], v[168:169]
	v_add_f64 v[148:149], v[10:11], v[148:149]
	v_mul_f64 v[102:103], v[224:225], s[42:43]
	v_add_f64 v[94:95], v[94:95], v[150:151]
	v_fma_f64 v[150:151], s[0:1], v[156:157], v[106:107]
	v_add_f64 v[112:113], v[112:113], v[148:149]
	v_fmac_f64_e32 v[108:109], s[18:19], v[176:177]
	v_add_f64 v[94:95], v[150:151], v[94:95]
	v_fma_f64 v[150:151], s[26:27], v[160:161], v[102:103]
	v_add_f64 v[108:109], v[108:109], v[112:113]
	v_fma_f64 v[112:113], v[138:139], s[22:23], -v[114:115]
	v_add_f64 v[94:95], v[150:151], v[94:95]
	v_mul_f64 v[150:151], v[232:233], s[58:59]
	v_fma_f64 v[110:111], v[152:153], s[20:21], -v[110:111]
	v_add_f64 v[112:113], v[8:9], v[112:113]
	v_fma_f64 v[192:193], s[16:17], v[170:171], v[150:151]
	v_fma_f64 v[106:107], v[156:157], s[0:1], -v[106:107]
	v_add_f64 v[110:111], v[110:111], v[112:113]
	v_add_f64 v[94:95], v[192:193], v[94:95]
	v_mul_f64 v[192:193], v[238:239], s[34:35]
	v_fmac_f64_e32 v[104:105], s[42:43], v[208:209]
	v_fma_f64 v[102:103], v[160:161], s[26:27], -v[102:103]
	v_add_f64 v[106:107], v[106:107], v[110:111]
	v_mov_b32_e32 v6, v248
	v_mov_b32_e32 v7, v249
	v_fma_f64 v[248:249], s[6:7], v[178:179], v[192:193]
	v_add_f64 v[104:105], v[104:105], v[108:109]
	v_fmac_f64_e32 v[100:101], s[58:59], v[228:229]
	v_fma_f64 v[108:109], v[170:171], s[16:17], -v[150:151]
	v_add_f64 v[102:103], v[102:103], v[106:107]
	v_add_f64 v[94:95], v[248:249], v[94:95]
	v_mul_f64 v[248:249], v[242:243], s[46:47]
	v_add_f64 v[100:101], v[100:101], v[104:105]
	v_fmac_f64_e32 v[98:99], s[34:35], v[236:237]
	v_fma_f64 v[104:105], v[178:179], s[6:7], -v[192:193]
	v_add_f64 v[102:103], v[108:109], v[102:103]
	v_mul_f64 v[148:149], v[144:145], s[20:21]
	v_add_f64 v[98:99], v[98:99], v[100:101]
	v_fma_f64 v[100:101], v[186:187], s[30:31], -v[248:249]
	v_add_f64 v[102:103], v[104:105], v[102:103]
	v_mul_f64 v[114:115], v[154:155], s[26:27]
	v_fma_f64 v[150:151], s[44:45], v[146:147], v[148:149]
	v_add_f64 v[100:101], v[100:101], v[102:103]
	v_mul_f64 v[112:113], v[158:159], s[6:7]
	v_fma_f64 v[102:103], s[42:43], v[168:169], v[114:115]
	v_add_f64 v[150:151], v[10:11], v[150:151]
	v_accvgpr_write_b32 a0, v250
	v_mul_f64 v[110:111], v[162:163], s[12:13]
	v_add_f64 v[102:103], v[102:103], v[150:151]
	v_fma_f64 v[150:151], s[34:35], v[176:177], v[112:113]
	v_accvgpr_write_b32 a1, v251
	v_accvgpr_write_b32 a2, v252
	;; [unrolled: 1-line block ×3, first 2 shown]
	v_fma_f64 v[250:251], s[30:31], v[186:187], v[248:249]
	v_mul_f64 v[252:253], v[210:211], s[12:13]
	v_fmac_f64_e32 v[96:97], s[46:47], v[240:241]
	v_mul_f64 v[108:109], v[174:175], s[30:31]
	v_add_f64 v[102:103], v[150:151], v[102:103]
	v_fma_f64 v[150:151], s[50:51], v[208:209], v[110:111]
	v_add_f64 v[250:251], v[250:251], v[94:95]
	v_fma_f64 v[94:95], s[28:29], v[244:245], v[252:253]
	v_mul_f64 v[254:255], v[246:247], s[50:51]
	v_fmac_f64_e32 v[252:253], s[50:51], v[244:245]
	v_add_f64 v[96:97], v[96:97], v[98:99]
	v_mul_f64 v[106:107], v[184:185], s[16:17]
	v_add_f64 v[102:103], v[150:151], v[102:103]
	v_fma_f64 v[150:151], s[52:53], v[228:229], v[108:109]
	v_add_f64 v[98:99], v[252:253], v[96:97]
	v_fma_f64 v[96:97], v[200:201], s[12:13], -v[254:255]
	v_mul_f64 v[104:105], v[188:189], s[0:1]
	v_add_f64 v[102:103], v[150:151], v[102:103]
	v_fma_f64 v[150:151], s[24:25], v[236:237], v[106:107]
	v_add_f64 v[96:97], v[96:97], v[100:101]
	v_fma_f64 v[100:101], s[48:49], v[240:241], v[104:105]
	v_add_f64 v[102:103], v[150:151], v[102:103]
	v_mul_f64 v[150:151], v[116:117], s[38:39]
	v_add_f64 v[100:101], v[100:101], v[102:103]
	v_fma_f64 v[102:103], s[20:21], v[138:139], v[150:151]
	v_mul_f64 v[192:193], v[118:119], s[40:41]
	v_add_f64 v[102:103], v[8:9], v[102:103]
	v_fma_f64 v[248:249], s[26:27], v[152:153], v[192:193]
	v_add_f64 v[94:95], v[94:95], v[92:93]
	v_fma_f64 v[92:93], s[12:13], v[200:201], v[254:255]
	v_add_f64 v[102:103], v[248:249], v[102:103]
	v_mul_f64 v[248:249], v[206:207], s[54:55]
	v_add_f64 v[92:93], v[92:93], v[250:251]
	v_fma_f64 v[250:251], s[6:7], v[156:157], v[248:249]
	v_add_f64 v[102:103], v[250:251], v[102:103]
	v_mul_f64 v[250:251], v[224:225], s[28:29]
	v_fma_f64 v[252:253], s[12:13], v[160:161], v[250:251]
	v_add_f64 v[102:103], v[252:253], v[102:103]
	v_mul_f64 v[252:253], v[232:233], s[46:47]
	;; [unrolled: 3-line block ×3, first 2 shown]
	v_fma_f64 v[76:77], s[16:17], v[178:179], v[254:255]
	v_mul_f64 v[78:79], v[242:243], s[18:19]
	v_add_f64 v[76:77], v[76:77], v[102:103]
	v_fma_f64 v[102:103], s[0:1], v[186:187], v[78:79]
	v_mul_f64 v[120:121], v[210:211], s[22:23]
	v_add_f64 v[76:77], v[102:103], v[76:77]
	;; [unrolled: 3-line block ×3, first 2 shown]
	v_fma_f64 v[100:101], s[22:23], v[200:201], v[122:123]
	v_fmac_f64_e32 v[148:149], s[38:39], v[146:147]
	v_add_f64 v[100:101], v[100:101], v[76:77]
	v_fmac_f64_e32 v[114:115], s[40:41], v[168:169]
	v_add_f64 v[76:77], v[10:11], v[148:149]
	v_add_f64 v[76:77], v[114:115], v[76:77]
	v_fmac_f64_e32 v[112:113], s[54:55], v[176:177]
	v_add_f64 v[76:77], v[112:113], v[76:77]
	v_fmac_f64_e32 v[110:111], s[28:29], v[208:209]
	;; [unrolled: 2-line block ×5, first 2 shown]
	v_fma_f64 v[106:107], v[138:139], s[20:21], -v[150:151]
	v_add_f64 v[76:77], v[104:105], v[76:77]
	v_fma_f64 v[104:105], v[152:153], s[26:27], -v[192:193]
	v_add_f64 v[106:107], v[8:9], v[106:107]
	v_add_f64 v[104:105], v[104:105], v[106:107]
	v_fma_f64 v[106:107], v[156:157], s[6:7], -v[248:249]
	v_add_f64 v[104:105], v[106:107], v[104:105]
	v_fma_f64 v[112:113], v[160:161], s[12:13], -v[250:251]
	v_fma_f64 v[110:111], v[170:171], s[30:31], -v[252:253]
	v_add_f64 v[104:105], v[112:113], v[104:105]
	v_fma_f64 v[108:109], v[178:179], s[16:17], -v[254:255]
	v_add_f64 v[104:105], v[110:111], v[104:105]
	v_fmac_f64_e32 v[120:121], s[36:37], v[244:245]
	v_fma_f64 v[78:79], v[186:187], s[0:1], -v[78:79]
	v_add_f64 v[104:105], v[108:109], v[104:105]
	v_mul_f64 v[114:115], v[144:145], s[16:17]
	v_add_f64 v[106:107], v[120:121], v[76:77]
	v_fma_f64 v[76:77], v[200:201], s[22:23], -v[122:123]
	v_add_f64 v[78:79], v[78:79], v[104:105]
	v_mul_f64 v[112:113], v[154:155], s[30:31]
	v_fma_f64 v[110:111], s[58:59], v[146:147], v[114:115]
	v_add_f64 v[104:105], v[76:77], v[78:79]
	v_mul_f64 v[78:79], v[158:159], s[20:21]
	v_fma_f64 v[108:109], s[52:53], v[168:169], v[112:113]
	v_add_f64 v[110:111], v[10:11], v[110:111]
	v_mul_f64 v[76:77], v[162:163], s[0:1]
	v_add_f64 v[108:109], v[108:109], v[110:111]
	v_fma_f64 v[110:111], s[38:39], v[176:177], v[78:79]
	v_add_f64 v[108:109], v[110:111], v[108:109]
	v_fma_f64 v[110:111], s[18:19], v[208:209], v[76:77]
	v_mul_f64 v[120:121], v[174:175], s[12:13]
	v_add_f64 v[108:109], v[110:111], v[108:109]
	v_fma_f64 v[110:111], s[50:51], v[228:229], v[120:121]
	v_mul_f64 v[122:123], v[184:185], s[26:27]
	;; [unrolled: 3-line block ×5, first 2 shown]
	v_add_f64 v[110:111], v[8:9], v[110:111]
	v_fma_f64 v[248:249], s[30:31], v[152:153], v[192:193]
	v_add_f64 v[110:111], v[248:249], v[110:111]
	v_mul_f64 v[248:249], v[206:207], s[44:45]
	v_fma_f64 v[250:251], s[20:21], v[156:157], v[248:249]
	v_fmac_f64_e32 v[114:115], s[24:25], v[146:147]
	v_add_f64 v[110:111], v[250:251], v[110:111]
	v_mul_f64 v[250:251], v[224:225], s[48:49]
	v_fmac_f64_e32 v[112:113], s[46:47], v[168:169]
	v_add_f64 v[114:115], v[10:11], v[114:115]
	v_fma_f64 v[252:253], s[0:1], v[160:161], v[250:251]
	v_add_f64 v[112:113], v[112:113], v[114:115]
	v_fmac_f64_e32 v[78:79], s[44:45], v[176:177]
	v_add_f64 v[110:111], v[252:253], v[110:111]
	v_mul_f64 v[252:253], v[232:233], s[28:29]
	v_add_f64 v[78:79], v[78:79], v[112:113]
	v_fmac_f64_e32 v[76:77], s[48:49], v[208:209]
	v_fma_f64 v[112:113], v[138:139], s[16:17], -v[150:151]
	v_fma_f64 v[254:255], s[12:13], v[170:171], v[252:253]
	v_add_f64 v[76:77], v[76:77], v[78:79]
	v_fma_f64 v[78:79], v[152:153], s[30:31], -v[192:193]
	v_add_f64 v[112:113], v[8:9], v[112:113]
	v_add_f64 v[110:111], v[254:255], v[110:111]
	v_mul_f64 v[254:255], v[238:239], s[42:43]
	v_add_f64 v[78:79], v[78:79], v[112:113]
	v_fma_f64 v[112:113], v[156:157], s[20:21], -v[248:249]
	v_fma_f64 v[124:125], s[26:27], v[178:179], v[254:255]
	v_fmac_f64_e32 v[120:121], s[28:29], v[228:229]
	v_add_f64 v[78:79], v[112:113], v[78:79]
	v_fma_f64 v[112:113], v[160:161], s[0:1], -v[250:251]
	v_add_f64 v[110:111], v[124:125], v[110:111]
	v_mul_f64 v[124:125], v[242:243], s[56:57]
	v_add_f64 v[76:77], v[120:121], v[76:77]
	v_fmac_f64_e32 v[122:123], s[42:43], v[236:237]
	v_add_f64 v[78:79], v[112:113], v[78:79]
	v_fma_f64 v[112:113], v[170:171], s[12:13], -v[252:253]
	v_fma_f64 v[126:127], s[22:23], v[186:187], v[124:125]
	v_mul_f64 v[128:129], v[210:211], s[6:7]
	v_add_f64 v[76:77], v[122:123], v[76:77]
	v_fmac_f64_e32 v[148:149], s[56:57], v[240:241]
	v_add_f64 v[78:79], v[112:113], v[78:79]
	v_fma_f64 v[112:113], v[178:179], s[26:27], -v[254:255]
	v_add_f64 v[126:127], v[126:127], v[110:111]
	v_fma_f64 v[110:111], s[34:35], v[244:245], v[128:129]
	v_mul_f64 v[130:131], v[246:247], s[54:55]
	v_add_f64 v[76:77], v[148:149], v[76:77]
	v_add_f64 v[78:79], v[112:113], v[78:79]
	v_fma_f64 v[112:113], v[186:187], s[22:23], -v[124:125]
	v_fmac_f64_e32 v[128:129], s[54:55], v[244:245]
	v_add_f64 v[78:79], v[112:113], v[78:79]
	v_add_f64 v[114:115], v[128:129], v[76:77]
	v_fma_f64 v[76:77], v[200:201], s[6:7], -v[130:131]
	v_add_f64 v[112:113], v[76:77], v[78:79]
	v_mul_f64 v[76:77], v[144:145], s[12:13]
	v_fma_f64 v[78:79], s[50:51], v[146:147], v[76:77]
	v_mul_f64 v[120:121], v[154:155], s[22:23]
	v_add_f64 v[78:79], v[10:11], v[78:79]
	v_fma_f64 v[122:123], s[56:57], v[168:169], v[120:121]
	v_add_f64 v[78:79], v[122:123], v[78:79]
	v_mul_f64 v[122:123], v[158:159], s[30:31]
	v_fma_f64 v[124:125], s[46:47], v[176:177], v[122:123]
	v_add_f64 v[110:111], v[110:111], v[108:109]
	v_fma_f64 v[108:109], s[6:7], v[200:201], v[130:131]
	v_add_f64 v[78:79], v[124:125], v[78:79]
	v_mul_f64 v[124:125], v[162:163], s[20:21]
	v_add_f64 v[108:109], v[108:109], v[126:127]
	v_fma_f64 v[126:127], s[38:39], v[208:209], v[124:125]
	v_add_f64 v[78:79], v[126:127], v[78:79]
	v_mul_f64 v[126:127], v[174:175], s[6:7]
	v_fma_f64 v[128:129], s[34:35], v[228:229], v[126:127]
	v_add_f64 v[78:79], v[128:129], v[78:79]
	v_mul_f64 v[128:129], v[184:185], s[0:1]
	;; [unrolled: 3-line block ×3, first 2 shown]
	v_fmac_f64_e32 v[76:77], s[28:29], v[146:147]
	v_fma_f64 v[148:149], s[58:59], v[240:241], v[130:131]
	v_mul_f64 v[150:151], v[116:117], s[28:29]
	v_fmac_f64_e32 v[120:121], s[36:37], v[168:169]
	v_add_f64 v[76:77], v[10:11], v[76:77]
	v_add_f64 v[78:79], v[148:149], v[78:79]
	v_mul_f64 v[148:149], v[118:119], s[36:37]
	v_fma_f64 v[116:117], s[12:13], v[138:139], v[150:151]
	v_fmac_f64_e32 v[122:123], s[52:53], v[176:177]
	v_add_f64 v[76:77], v[120:121], v[76:77]
	v_add_f64 v[116:117], v[8:9], v[116:117]
	v_fma_f64 v[118:119], s[22:23], v[152:153], v[148:149]
	v_mul_f64 v[192:193], v[206:207], s[52:53]
	v_fmac_f64_e32 v[124:125], s[44:45], v[208:209]
	v_add_f64 v[76:77], v[122:123], v[76:77]
	v_add_f64 v[116:117], v[118:119], v[116:117]
	v_fma_f64 v[118:119], s[30:31], v[156:157], v[192:193]
	v_mul_f64 v[206:207], v[224:225], s[44:45]
	v_mul_f64 v[120:121], v[138:139], s[0:1]
	v_add_f64 v[76:77], v[124:125], v[76:77]
	v_mul_f64 v[124:125], v[138:139], s[6:7]
	v_fma_f64 v[138:139], v[138:139], s[12:13], -v[150:151]
	v_add_f64 v[116:117], v[118:119], v[116:117]
	v_fma_f64 v[118:119], s[20:21], v[160:161], v[206:207]
	v_mul_f64 v[224:225], v[232:233], s[54:55]
	v_fmac_f64_e32 v[126:127], s[54:55], v[228:229]
	v_mul_f64 v[122:123], v[144:145], s[0:1]
	v_mul_f64 v[168:169], v[144:145], s[6:7]
	v_fma_f64 v[144:145], v[152:153], s[22:23], -v[148:149]
	v_add_f64 v[138:139], v[8:9], v[138:139]
	v_add_f64 v[116:117], v[118:119], v[116:117]
	v_fma_f64 v[118:119], s[6:7], v[170:171], v[224:225]
	v_mul_f64 v[232:233], v[238:239], s[18:19]
	v_fmac_f64_e32 v[128:129], s[18:19], v[236:237]
	v_add_f64 v[76:77], v[126:127], v[76:77]
	v_fma_f64 v[146:147], v[156:157], s[30:31], -v[192:193]
	v_add_f64 v[138:139], v[144:145], v[138:139]
	v_add_f64 v[116:117], v[118:119], v[116:117]
	v_fma_f64 v[118:119], s[0:1], v[178:179], v[232:233]
	v_mul_f64 v[238:239], v[242:243], s[24:25]
	v_fmac_f64_e32 v[130:131], s[24:25], v[240:241]
	v_add_f64 v[76:77], v[128:129], v[76:77]
	v_mul_f64 v[128:129], v[154:155], s[6:7]
	v_mul_f64 v[154:155], v[154:155], s[16:17]
	v_add_f64 v[138:139], v[146:147], v[138:139]
	v_fma_f64 v[144:145], v[160:161], s[20:21], -v[206:207]
	v_add_f64 v[168:169], v[198:199], v[168:169]
	v_add_f64 v[116:117], v[118:119], v[116:117]
	v_fma_f64 v[118:119], s[16:17], v[186:187], v[238:239]
	v_mul_f64 v[242:243], v[210:211], s[26:27]
	v_mul_f64 v[126:127], v[152:153], s[6:7]
	v_add_f64 v[76:77], v[130:131], v[76:77]
	v_mul_f64 v[130:131], v[152:153], s[16:17]
	v_mul_f64 v[148:149], v[156:157], s[12:13]
	;; [unrolled: 1-line block ×4, first 2 shown]
	v_add_f64 v[138:139], v[144:145], v[138:139]
	v_fma_f64 v[144:145], v[170:171], s[6:7], -v[224:225]
	v_add_f64 v[154:155], v[202:203], v[154:155]
	v_add_f64 v[168:169], v[10:11], v[168:169]
	v_add_f64 v[124:125], v[124:125], -v[180:181]
	v_add_f64 v[116:117], v[118:119], v[116:117]
	v_fma_f64 v[118:119], s[40:41], v[244:245], v[242:243]
	v_mul_f64 v[176:177], v[162:163], s[16:17]
	v_mul_f64 v[162:163], v[162:163], s[30:31]
	v_add_f64 v[138:139], v[144:145], v[138:139]
	v_fma_f64 v[144:145], v[178:179], s[0:1], -v[232:233]
	v_add_f64 v[156:157], v[212:213], v[156:157]
	v_add_f64 v[154:155], v[154:155], v[168:169]
	v_add_f64 v[130:131], v[130:131], -v[182:183]
	v_add_f64 v[124:125], v[8:9], v[124:125]
	v_add_f64 v[118:119], v[118:119], v[78:79]
	v_mul_f64 v[78:79], v[246:247], s[42:43]
	v_fmac_f64_e32 v[242:243], s[42:43], v[244:245]
	v_mul_f64 v[150:151], v[158:159], s[12:13]
	v_mul_f64 v[158:159], v[160:161], s[16:17]
	;; [unrolled: 1-line block ×5, first 2 shown]
	v_add_f64 v[138:139], v[144:145], v[138:139]
	v_fma_f64 v[144:145], v[186:187], s[16:17], -v[238:239]
	v_add_f64 v[162:163], v[216:217], v[162:163]
	v_add_f64 v[154:155], v[156:157], v[154:155]
	v_add_f64 v[152:153], v[152:153], -v[190:191]
	v_add_f64 v[124:125], v[130:131], v[124:125]
	v_mul_f64 v[192:193], v[170:171], s[20:21]
	v_mul_f64 v[170:171], v[170:171], s[26:27]
	v_add_f64 v[138:139], v[144:145], v[138:139]
	v_mul_f64 v[224:225], v[184:185], s[22:23]
	v_mul_f64 v[184:185], v[184:185], s[20:21]
	v_add_f64 v[146:147], v[242:243], v[76:77]
	v_fma_f64 v[76:77], v[200:201], s[26:27], -v[78:79]
	v_add_f64 v[174:175], v[220:221], v[174:175]
	v_add_f64 v[154:155], v[162:163], v[154:155]
	v_add_f64 v[160:161], v[160:161], -v[196:197]
	v_add_f64 v[124:125], v[152:153], v[124:125]
	v_mul_f64 v[208:209], v[178:179], s[22:23]
	v_mul_f64 v[178:179], v[178:179], s[20:21]
	v_add_f64 v[144:145], v[76:77], v[138:139]
	v_mul_f64 v[138:139], v[188:189], s[26:27]
	v_mul_f64 v[188:189], v[188:189], s[12:13]
	v_add_f64 v[184:185], v[226:227], v[184:185]
	v_add_f64 v[154:155], v[174:175], v[154:155]
	v_add_f64 v[168:169], v[170:171], -v[204:205]
	v_add_f64 v[124:125], v[160:161], v[124:125]
	v_fma_f64 v[246:247], s[26:27], v[200:201], v[78:79]
	v_mul_f64 v[76:77], v[186:187], s[26:27]
	v_mul_f64 v[78:79], v[210:211], s[0:1]
	;; [unrolled: 1-line block ×3, first 2 shown]
	v_add_f64 v[188:189], v[230:231], v[188:189]
	v_add_f64 v[154:155], v[184:185], v[154:155]
	v_add_f64 v[162:163], v[178:179], -v[214:215]
	v_add_f64 v[124:125], v[168:169], v[124:125]
	v_mov_b32_e32 v249, v7
	v_mov_b32_e32 v248, v6
	v_add_f64 v[78:79], v[234:235], v[78:79]
	v_mul_f64 v[228:229], v[200:201], s[30:31]
	v_mul_f64 v[200:201], v[200:201], s[0:1]
	v_add_f64 v[154:155], v[188:189], v[154:155]
	v_add_f64 v[156:157], v[186:187], -v[218:219]
	v_add_f64 v[124:125], v[162:163], v[124:125]
	v_accvgpr_read_b32 v6, a22
	v_add_f64 v[154:155], v[78:79], v[154:155]
	v_add_f64 v[78:79], v[200:201], -v[222:223]
	v_add_f64 v[124:125], v[156:157], v[124:125]
	v_accvgpr_read_b32 v7, a23
	v_add_f64 v[152:153], v[78:79], v[124:125]
	v_add_f64 v[124:125], v[164:165], v[138:139]
	;; [unrolled: 1-line block ×3, first 2 shown]
	v_accvgpr_read_b32 v6, a20
	v_accvgpr_read_b32 v7, a21
	v_add_f64 v[128:129], v[6:7], v[128:129]
	v_accvgpr_read_b32 v6, a18
	v_accvgpr_read_b32 v7, a19
	v_add_f64 v[122:123], v[6:7], v[122:123]
	v_add_f64 v[122:123], v[10:11], v[122:123]
	;; [unrolled: 1-line block ×9, first 2 shown]
	v_mul_f64 v[210:211], v[210:211], s[30:31]
	v_add_f64 v[0:1], v[0:1], v[122:123]
	v_add_f64 v[78:79], v[172:173], v[210:211]
	;; [unrolled: 1-line block ×4, first 2 shown]
	v_add_f64 v[78:79], v[192:193], -v[136:137]
	v_mov_b32_e32 v193, v5
	v_mov_b32_e32 v192, v4
	v_accvgpr_read_b32 v4, a16
	v_accvgpr_read_b32 v5, a17
	v_add_f64 v[128:129], v[148:149], -v[4:5]
	v_accvgpr_read_b32 v4, a14
	v_accvgpr_read_b32 v5, a15
	v_add_f64 v[126:127], v[126:127], -v[4:5]
	;; [unrolled: 3-line block ×3, first 2 shown]
	v_add_f64 v[120:121], v[8:9], v[120:121]
	v_add_f64 v[120:121], v[126:127], v[120:121]
	v_add_f64 v[124:125], v[158:159], -v[132:133]
	v_add_f64 v[120:121], v[128:129], v[120:121]
	v_add_f64 v[120:121], v[124:125], v[120:121]
	v_add_f64 v[2:3], v[76:77], -v[2:3]
	v_add_f64 v[76:77], v[208:209], -v[142:143]
	v_add_f64 v[78:79], v[78:79], v[120:121]
	v_add_f64 v[76:77], v[76:77], v[78:79]
	v_add_f64 v[0:1], v[228:229], -v[166:167]
	v_add_f64 v[2:3], v[2:3], v[76:77]
	v_add_f64 v[120:121], v[0:1], v[2:3]
	;; [unrolled: 1-line block ×32, first 2 shown]
	v_accvgpr_read_b32 v253, a3
	v_add_f64 v[0:1], v[0:1], v[68:69]
	v_mul_lo_u16_e32 v4, 17, v194
	v_accvgpr_read_b32 v252, a2
	v_accvgpr_read_b32 v251, a1
	;; [unrolled: 1-line block ×3, first 2 shown]
	v_add_f64 v[0:1], v[0:1], v[72:73]
	v_add_lshl_u32 v4, v193, v4, 4
	v_add_f64 v[116:117], v[246:247], v[116:117]
	ds_write_b128 v4, v[0:3]
	ds_write_b128 v4, v[120:123] offset:16
	ds_write_b128 v4, v[152:155] offset:32
	;; [unrolled: 1-line block ×16, first 2 shown]
.LBB0_7:
	s_or_b64 exec, exec, s[14:15]
	v_lshl_add_u64 v[68:69], v[194:195], 0, 34
	s_movk_i32 s0, 0xf1
	v_mul_lo_u16_sdwa v1, v68, s0 dst_sel:DWORD dst_unused:UNUSED_PAD src0_sel:BYTE_0 src1_sel:DWORD
	v_lshrrev_b16_e32 v1, 12, v1
	v_mul_lo_u16_e32 v1, 17, v1
	v_lshlrev_b32_e32 v0, 6, v194
	v_sub_u16_e32 v4, v68, v1
	s_load_dwordx4 s[4:7], s[4:5], 0x0
	s_waitcnt lgkmcnt(0)
	; wave barrier
	s_waitcnt lgkmcnt(0)
	global_load_dwordx4 v[20:23], v0, s[10:11]
	global_load_dwordx4 v[16:19], v0, s[10:11] offset:16
	global_load_dwordx4 v[12:15], v0, s[10:11] offset:32
	;; [unrolled: 1-line block ×3, first 2 shown]
	v_lshlrev_b16_e32 v1, 2, v4
	v_and_b32_e32 v1, 0xfc, v1
	v_lshlrev_b32_e32 v1, 4, v1
	global_load_dwordx4 v[36:39], v1, s[10:11]
	global_load_dwordx4 v[32:35], v1, s[10:11] offset:16
	global_load_dwordx4 v[28:31], v1, s[10:11] offset:32
	global_load_dwordx4 v[170:173], v1, s[10:11] offset:48
	v_add_lshl_u32 v152, v193, v194, 4
	ds_read_b128 v[48:51], v152
	ds_read_b128 v[44:47], v152 offset:272
	ds_read_b128 v[52:55], v152 offset:1632
	;; [unrolled: 1-line block ×14, first 2 shown]
	s_mov_b32 s12, 0x134454ff
	s_mov_b32 s13, 0x3fee6f0e
	;; [unrolled: 1-line block ×10, first 2 shown]
	v_mov_b32_e32 v1, 0
	v_lshlrev_b32_e32 v92, 5, v194
	v_lshl_add_u64 v[0:1], s[10:11], 0, v[0:1]
	s_waitcnt lgkmcnt(0)
	; wave barrier
	s_waitcnt vmcnt(7) lgkmcnt(0)
	v_mul_f64 v[2:3], v[72:73], v[22:23]
	s_waitcnt vmcnt(6)
	v_mul_f64 v[74:75], v[54:55], v[18:19]
	v_fma_f64 v[134:135], v[70:71], v[20:21], -v[2:3]
	s_waitcnt vmcnt(5)
	v_mul_f64 v[86:87], v[100:101], v[14:15]
	v_fma_f64 v[136:137], v[52:53], v[16:17], -v[74:75]
	v_add_f64 v[2:3], v[48:49], v[134:135]
	v_mul_f64 v[120:121], v[52:53], v[18:19]
	v_mul_f64 v[122:123], v[98:99], v[14:15]
	s_waitcnt vmcnt(4)
	v_mul_f64 v[90:91], v[62:63], v[10:11]
	v_mul_f64 v[128:129], v[58:59], v[18:19]
	v_fma_f64 v[98:99], v[98:99], v[12:13], -v[86:87]
	v_add_f64 v[52:53], v[2:3], v[136:137]
	v_mul_f64 v[118:119], v[70:71], v[22:23]
	v_mul_f64 v[124:125], v[60:61], v[10:11]
	;; [unrolled: 1-line block ×4, first 2 shown]
	v_fmac_f64_e32 v[122:123], v[100:101], v[12:13]
	v_fma_f64 v[100:101], v[60:61], v[8:9], -v[90:91]
	v_fma_f64 v[128:129], v[56:57], v[16:17], -v[128:129]
	s_waitcnt vmcnt(2)
	v_mul_f64 v[56:57], v[104:105], v[34:35]
	v_add_f64 v[52:53], v[52:53], v[98:99]
	v_mul_f64 v[126:127], v[80:81], v[22:23]
	v_fmac_f64_e32 v[118:119], v[72:73], v[20:21]
	v_fmac_f64_e32 v[120:121], v[54:55], v[16:17]
	;; [unrolled: 1-line block ×4, first 2 shown]
	v_mul_f64 v[54:55], v[96:97], v[38:39]
	v_fma_f64 v[80:81], v[102:103], v[32:33], -v[56:57]
	v_add_f64 v[56:57], v[52:53], v[100:101]
	v_add_f64 v[52:53], v[136:137], v[98:99]
	v_mul_f64 v[84:85], v[106:107], v[14:15]
	v_mul_f64 v[132:133], v[66:67], v[10:11]
	v_fma_f64 v[126:127], v[78:79], v[20:21], -v[126:127]
	v_fmac_f64_e32 v[82:83], v[58:59], v[16:17]
	s_waitcnt vmcnt(1)
	v_mul_f64 v[58:59], v[112:113], v[30:31]
	s_waitcnt vmcnt(0)
	v_mul_f64 v[60:61], v[116:117], v[172:173]
	v_fma_f64 v[78:79], v[94:95], v[36:37], -v[54:55]
	v_fma_f64 v[52:53], -0.5, v[52:53], v[48:49]
	v_add_f64 v[54:55], v[118:119], -v[124:125]
	v_mul_f64 v[130:131], v[108:109], v[14:15]
	v_mul_f64 v[88:89], v[64:65], v[10:11]
	v_fmac_f64_e32 v[84:85], v[108:109], v[12:13]
	v_fma_f64 v[108:109], v[64:65], v[8:9], -v[132:133]
	v_fma_f64 v[86:87], v[110:111], v[28:29], -v[58:59]
	;; [unrolled: 1-line block ×3, first 2 shown]
	v_fma_f64 v[60:61], s[12:13], v[54:55], v[52:53]
	v_add_f64 v[58:59], v[120:121], -v[122:123]
	v_add_f64 v[62:63], v[134:135], -v[136:137]
	;; [unrolled: 1-line block ×3, first 2 shown]
	v_fmac_f64_e32 v[52:53], s[16:17], v[54:55]
	v_fmac_f64_e32 v[60:61], s[0:1], v[58:59]
	v_add_f64 v[62:63], v[62:63], v[64:65]
	v_fmac_f64_e32 v[52:53], s[18:19], v[58:59]
	v_fmac_f64_e32 v[60:61], s[14:15], v[62:63]
	;; [unrolled: 1-line block ×3, first 2 shown]
	v_add_f64 v[62:63], v[134:135], v[100:101]
	v_fmac_f64_e32 v[48:49], -0.5, v[62:63]
	v_fma_f64 v[64:65], s[16:17], v[58:59], v[48:49]
	v_fmac_f64_e32 v[48:49], s[12:13], v[58:59]
	v_fmac_f64_e32 v[64:65], s[0:1], v[54:55]
	;; [unrolled: 1-line block ×3, first 2 shown]
	v_add_f64 v[54:55], v[50:51], v[118:119]
	v_add_f64 v[54:55], v[54:55], v[120:121]
	;; [unrolled: 1-line block ×3, first 2 shown]
	v_fmac_f64_e32 v[88:89], v[66:67], v[8:9]
	v_add_f64 v[62:63], v[136:137], -v[134:135]
	v_add_f64 v[66:67], v[98:99], -v[100:101]
	v_add_f64 v[58:59], v[54:55], v[124:125]
	v_add_f64 v[54:55], v[120:121], v[122:123]
	v_mul_f64 v[2:3], v[94:95], v[38:39]
	v_add_f64 v[62:63], v[62:63], v[66:67]
	v_fma_f64 v[54:55], -0.5, v[54:55], v[50:51]
	v_add_f64 v[94:95], v[134:135], -v[100:101]
	v_fmac_f64_e32 v[2:3], v[96:97], v[36:37]
	v_fmac_f64_e32 v[64:65], s[14:15], v[62:63]
	;; [unrolled: 1-line block ×3, first 2 shown]
	v_fma_f64 v[62:63], s[16:17], v[94:95], v[54:55]
	v_add_f64 v[96:97], v[136:137], -v[98:99]
	v_add_f64 v[66:67], v[118:119], -v[120:121]
	;; [unrolled: 1-line block ×3, first 2 shown]
	v_fmac_f64_e32 v[54:55], s[12:13], v[94:95]
	v_fmac_f64_e32 v[62:63], s[18:19], v[96:97]
	v_add_f64 v[66:67], v[66:67], v[98:99]
	v_fmac_f64_e32 v[54:55], s[0:1], v[96:97]
	v_fmac_f64_e32 v[62:63], s[14:15], v[66:67]
	;; [unrolled: 1-line block ×3, first 2 shown]
	v_add_f64 v[66:67], v[118:119], v[124:125]
	v_fmac_f64_e32 v[50:51], -0.5, v[66:67]
	v_fma_f64 v[130:131], v[106:107], v[12:13], -v[130:131]
	v_fma_f64 v[66:67], s[12:13], v[96:97], v[50:51]
	v_add_f64 v[98:99], v[120:121], -v[118:119]
	v_add_f64 v[100:101], v[122:123], -v[124:125]
	v_fmac_f64_e32 v[50:51], s[16:17], v[96:97]
	v_fmac_f64_e32 v[66:67], s[18:19], v[94:95]
	v_add_f64 v[98:99], v[98:99], v[100:101]
	v_fmac_f64_e32 v[50:51], s[0:1], v[94:95]
	v_add_f64 v[96:97], v[128:129], v[130:131]
	v_mul_f64 v[70:71], v[102:103], v[34:35]
	v_fmac_f64_e32 v[66:67], s[14:15], v[98:99]
	v_fmac_f64_e32 v[50:51], s[14:15], v[98:99]
	v_fma_f64 v[98:99], -0.5, v[96:97], v[44:45]
	v_add_f64 v[96:97], v[76:77], -v[88:89]
	v_fmac_f64_e32 v[70:71], v[104:105], v[32:33]
	v_fma_f64 v[102:103], s[12:13], v[96:97], v[98:99]
	v_add_f64 v[100:101], v[82:83], -v[84:85]
	v_add_f64 v[104:105], v[126:127], -v[128:129]
	;; [unrolled: 1-line block ×3, first 2 shown]
	v_fmac_f64_e32 v[98:99], s[16:17], v[96:97]
	v_fmac_f64_e32 v[102:103], s[0:1], v[100:101]
	v_add_f64 v[104:105], v[104:105], v[106:107]
	v_fmac_f64_e32 v[98:99], s[18:19], v[100:101]
	v_fmac_f64_e32 v[102:103], s[14:15], v[104:105]
	;; [unrolled: 1-line block ×3, first 2 shown]
	v_add_f64 v[104:105], v[126:127], v[108:109]
	v_add_f64 v[94:95], v[44:45], v[126:127]
	v_fmac_f64_e32 v[44:45], -0.5, v[104:105]
	v_mul_f64 v[72:73], v[110:111], v[30:31]
	v_add_f64 v[94:95], v[94:95], v[128:129]
	v_fma_f64 v[106:107], s[16:17], v[100:101], v[44:45]
	v_add_f64 v[104:105], v[128:129], -v[126:127]
	v_add_f64 v[110:111], v[130:131], -v[108:109]
	v_fmac_f64_e32 v[44:45], s[12:13], v[100:101]
	v_add_f64 v[100:101], v[82:83], v[84:85]
	v_add_f64 v[94:95], v[94:95], v[130:131]
	v_fmac_f64_e32 v[106:107], s[0:1], v[96:97]
	v_add_f64 v[104:105], v[104:105], v[110:111]
	v_fmac_f64_e32 v[44:45], s[18:19], v[96:97]
	v_fma_f64 v[100:101], -0.5, v[100:101], v[46:47]
	v_add_f64 v[110:111], v[126:127], -v[108:109]
	v_mul_f64 v[74:75], v[114:115], v[172:173]
	v_fmac_f64_e32 v[72:73], v[112:113], v[28:29]
	v_add_f64 v[94:95], v[94:95], v[108:109]
	v_fmac_f64_e32 v[106:107], s[14:15], v[104:105]
	v_fmac_f64_e32 v[44:45], s[14:15], v[104:105]
	v_fma_f64 v[104:105], s[16:17], v[110:111], v[100:101]
	v_add_f64 v[112:113], v[128:129], -v[130:131]
	v_add_f64 v[108:109], v[76:77], -v[82:83]
	;; [unrolled: 1-line block ×3, first 2 shown]
	v_fmac_f64_e32 v[100:101], s[12:13], v[110:111]
	v_fmac_f64_e32 v[104:105], s[18:19], v[112:113]
	v_add_f64 v[108:109], v[108:109], v[114:115]
	v_fmac_f64_e32 v[100:101], s[0:1], v[112:113]
	v_fmac_f64_e32 v[104:105], s[14:15], v[108:109]
	v_fmac_f64_e32 v[100:101], s[14:15], v[108:109]
	v_add_f64 v[108:109], v[76:77], v[88:89]
	v_add_f64 v[96:97], v[46:47], v[76:77]
	v_fmac_f64_e32 v[46:47], -0.5, v[108:109]
	v_add_f64 v[96:97], v[96:97], v[82:83]
	v_fma_f64 v[108:109], s[12:13], v[112:113], v[46:47]
	v_add_f64 v[76:77], v[82:83], -v[76:77]
	v_add_f64 v[82:83], v[84:85], -v[88:89]
	v_fmac_f64_e32 v[46:47], s[16:17], v[112:113]
	v_fmac_f64_e32 v[108:109], s[18:19], v[110:111]
	v_add_f64 v[76:77], v[76:77], v[82:83]
	v_fmac_f64_e32 v[46:47], s[0:1], v[110:111]
	v_fmac_f64_e32 v[108:109], s[14:15], v[76:77]
	;; [unrolled: 1-line block ×3, first 2 shown]
	v_add_f64 v[76:77], v[40:41], v[78:79]
	v_add_f64 v[76:77], v[76:77], v[80:81]
	;; [unrolled: 1-line block ×3, first 2 shown]
	v_fmac_f64_e32 v[74:75], v[116:117], v[170:171]
	v_add_f64 v[82:83], v[76:77], v[90:91]
	v_add_f64 v[76:77], v[80:81], v[86:87]
	;; [unrolled: 1-line block ×3, first 2 shown]
	v_fma_f64 v[110:111], -0.5, v[76:77], v[40:41]
	v_add_f64 v[84:85], v[2:3], -v[74:75]
	v_add_f64 v[96:97], v[96:97], v[88:89]
	v_fma_f64 v[76:77], s[12:13], v[84:85], v[110:111]
	v_add_f64 v[112:113], v[70:71], -v[72:73]
	v_add_f64 v[88:89], v[78:79], -v[80:81]
	;; [unrolled: 1-line block ×3, first 2 shown]
	v_fmac_f64_e32 v[110:111], s[16:17], v[84:85]
	v_fmac_f64_e32 v[76:77], s[0:1], v[112:113]
	v_add_f64 v[88:89], v[88:89], v[114:115]
	v_fmac_f64_e32 v[110:111], s[18:19], v[112:113]
	v_fmac_f64_e32 v[76:77], s[14:15], v[88:89]
	;; [unrolled: 1-line block ×3, first 2 shown]
	v_add_f64 v[88:89], v[78:79], v[90:91]
	v_fmac_f64_e32 v[40:41], -0.5, v[88:89]
	v_fma_f64 v[88:89], s[16:17], v[112:113], v[40:41]
	v_add_f64 v[114:115], v[80:81], -v[78:79]
	v_add_f64 v[116:117], v[86:87], -v[90:91]
	v_fmac_f64_e32 v[40:41], s[12:13], v[112:113]
	v_fmac_f64_e32 v[88:89], s[0:1], v[84:85]
	v_add_f64 v[114:115], v[114:115], v[116:117]
	v_fmac_f64_e32 v[40:41], s[18:19], v[84:85]
	v_add_f64 v[112:113], v[70:71], v[72:73]
	v_fmac_f64_e32 v[88:89], s[14:15], v[114:115]
	v_fmac_f64_e32 v[40:41], s[14:15], v[114:115]
	v_fma_f64 v[112:113], -0.5, v[112:113], v[42:43]
	v_add_f64 v[114:115], v[78:79], -v[90:91]
	v_fma_f64 v[78:79], s[16:17], v[114:115], v[112:113]
	v_add_f64 v[80:81], v[80:81], -v[86:87]
	v_add_f64 v[86:87], v[2:3], -v[70:71]
	v_add_f64 v[90:91], v[74:75], -v[72:73]
	v_fmac_f64_e32 v[112:113], s[12:13], v[114:115]
	v_fmac_f64_e32 v[78:79], s[18:19], v[80:81]
	v_add_f64 v[86:87], v[86:87], v[90:91]
	v_fmac_f64_e32 v[112:113], s[0:1], v[80:81]
	v_fmac_f64_e32 v[78:79], s[14:15], v[86:87]
	;; [unrolled: 1-line block ×3, first 2 shown]
	v_add_f64 v[86:87], v[2:3], v[74:75]
	v_add_f64 v[84:85], v[42:43], v[2:3]
	v_fmac_f64_e32 v[42:43], -0.5, v[86:87]
	v_add_f64 v[84:85], v[84:85], v[70:71]
	v_fma_f64 v[90:91], s[12:13], v[80:81], v[42:43]
	v_add_f64 v[2:3], v[70:71], -v[2:3]
	v_add_f64 v[70:71], v[72:73], -v[74:75]
	v_fmac_f64_e32 v[42:43], s[16:17], v[80:81]
	v_fmac_f64_e32 v[90:91], s[18:19], v[114:115]
	v_add_f64 v[2:3], v[2:3], v[70:71]
	v_fmac_f64_e32 v[42:43], s[0:1], v[114:115]
	v_add_f64 v[84:85], v[84:85], v[72:73]
	v_fmac_f64_e32 v[90:91], s[14:15], v[2:3]
	v_fmac_f64_e32 v[42:43], s[14:15], v[2:3]
	v_and_b32_e32 v2, 0xff, v4
	v_sub_co_u32_e64 v0, s[0:1], v0, v92
	v_add_f64 v[84:85], v[84:85], v[74:75]
	v_add_lshl_u32 v153, v193, v2, 4
	v_subbrev_co_u32_e64 v1, s[0:1], 0, v1, s[0:1]
	ds_write_b128 v152, v[56:59]
	ds_write_b128 v152, v[60:63] offset:272
	ds_write_b128 v152, v[64:67] offset:544
	;; [unrolled: 1-line block ×14, first 2 shown]
	s_waitcnt lgkmcnt(0)
	; wave barrier
	s_waitcnt lgkmcnt(0)
	global_load_dwordx4 v[174:177], v[0:1], off offset:1088
	global_load_dwordx4 v[40:43], v[0:1], off offset:1104
	v_add_u32_e32 v0, 0x220, v92
	global_load_dwordx4 v[52:55], v0, s[10:11] offset:1088
	global_load_dwordx4 v[48:51], v0, s[10:11] offset:1104
	v_lshlrev_b32_e32 v0, 5, v68
	global_load_dwordx4 v[60:63], v0, s[10:11] offset:1088
	global_load_dwordx4 v[56:59], v0, s[10:11] offset:1104
	v_add_u32_e32 v0, 0x660, v92
	global_load_dwordx4 v[68:71], v0, s[10:11] offset:1088
	global_load_dwordx4 v[64:67], v0, s[10:11] offset:1104
	v_add_u32_e32 v0, 0x880, v92
	global_load_dwordx4 v[76:79], v0, s[10:11] offset:1088
	global_load_dwordx4 v[72:75], v0, s[10:11] offset:1104
	ds_read_b128 v[80:83], v152
	ds_read_b128 v[84:87], v152 offset:272
	ds_read_b128 v[0:3], v152 offset:2720
	;; [unrolled: 1-line block ×14, first 2 shown]
	s_mov_b32 s0, 0xe8584caa
	s_mov_b32 s1, 0x3febb67a
	s_mov_b32 s11, 0xbfebb67a
	s_mov_b32 s10, s0
	s_waitcnt vmcnt(9) lgkmcnt(4)
	v_mul_f64 v[136:137], v[122:123], v[176:177]
	v_fma_f64 v[136:137], v[120:121], v[174:175], -v[136:137]
	v_mul_f64 v[120:121], v[120:121], v[176:177]
	v_fmac_f64_e32 v[120:121], v[122:123], v[174:175]
	s_waitcnt vmcnt(8)
	v_mul_f64 v[122:123], v[2:3], v[42:43]
	v_fma_f64 v[122:123], v[0:1], v[40:41], -v[122:123]
	v_mul_f64 v[0:1], v[0:1], v[42:43]
	v_fmac_f64_e32 v[0:1], v[2:3], v[40:41]
	s_waitcnt vmcnt(7)
	v_mul_f64 v[2:3], v[98:99], v[54:55]
	v_fma_f64 v[2:3], v[96:97], v[52:53], -v[2:3]
	v_mul_f64 v[138:139], v[96:97], v[54:55]
	s_waitcnt vmcnt(6)
	v_mul_f64 v[96:97], v[90:91], v[50:51]
	v_fma_f64 v[140:141], v[88:89], v[48:49], -v[96:97]
	v_mul_f64 v[142:143], v[88:89], v[50:51]
	s_waitcnt vmcnt(5)
	v_mul_f64 v[88:89], v[106:107], v[62:63]
	v_fma_f64 v[144:145], v[104:105], v[60:61], -v[88:89]
	s_waitcnt vmcnt(4)
	v_mul_f64 v[88:89], v[114:115], v[58:59]
	v_fma_f64 v[148:149], v[112:113], v[56:57], -v[88:89]
	s_waitcnt vmcnt(3) lgkmcnt(2)
	v_mul_f64 v[88:89], v[126:127], v[70:71]
	v_fma_f64 v[154:155], v[124:125], v[68:69], -v[88:89]
	s_waitcnt vmcnt(2)
	v_mul_f64 v[88:89], v[118:119], v[66:67]
	v_fma_f64 v[158:159], v[116:117], v[64:65], -v[88:89]
	s_waitcnt vmcnt(1) lgkmcnt(1)
	v_mul_f64 v[88:89], v[130:131], v[78:79]
	v_fmac_f64_e32 v[142:143], v[90:91], v[48:49]
	v_fma_f64 v[162:163], v[128:129], v[76:77], -v[88:89]
	s_waitcnt vmcnt(0) lgkmcnt(0)
	v_mul_f64 v[88:89], v[134:135], v[74:75]
	v_add_f64 v[90:91], v[136:137], v[122:123]
	v_fma_f64 v[166:167], v[132:133], v[72:73], -v[88:89]
	v_add_f64 v[88:89], v[80:81], v[136:137]
	v_fmac_f64_e32 v[80:81], -0.5, v[90:91]
	v_add_f64 v[90:91], v[120:121], -v[0:1]
	v_fma_f64 v[96:97], s[0:1], v[90:91], v[80:81]
	v_fmac_f64_e32 v[80:81], s[10:11], v[90:91]
	v_add_f64 v[90:91], v[82:83], v[120:121]
	v_add_f64 v[90:91], v[90:91], v[0:1]
	;; [unrolled: 1-line block ×3, first 2 shown]
	v_fmac_f64_e32 v[82:83], -0.5, v[0:1]
	v_add_f64 v[0:1], v[136:137], -v[122:123]
	v_fmac_f64_e32 v[138:139], v[98:99], v[52:53]
	v_fma_f64 v[98:99], s[10:11], v[0:1], v[82:83]
	v_fmac_f64_e32 v[82:83], s[0:1], v[0:1]
	v_add_f64 v[0:1], v[84:85], v[2:3]
	v_mul_f64 v[146:147], v[104:105], v[62:63]
	v_add_f64 v[104:105], v[0:1], v[140:141]
	v_add_f64 v[0:1], v[2:3], v[140:141]
	v_fmac_f64_e32 v[84:85], -0.5, v[0:1]
	v_add_f64 v[0:1], v[138:139], -v[142:143]
	v_mul_f64 v[150:151], v[112:113], v[58:59]
	v_fma_f64 v[112:113], s[0:1], v[0:1], v[84:85]
	v_fmac_f64_e32 v[84:85], s[10:11], v[0:1]
	v_add_f64 v[0:1], v[86:87], v[138:139]
	v_fmac_f64_e32 v[146:147], v[106:107], v[60:61]
	v_add_f64 v[106:107], v[0:1], v[142:143]
	v_add_f64 v[0:1], v[138:139], v[142:143]
	v_fmac_f64_e32 v[86:87], -0.5, v[0:1]
	v_add_f64 v[0:1], v[2:3], -v[140:141]
	v_fmac_f64_e32 v[150:151], v[114:115], v[56:57]
	v_fma_f64 v[114:115], s[10:11], v[0:1], v[86:87]
	v_fmac_f64_e32 v[86:87], s[0:1], v[0:1]
	v_add_f64 v[0:1], v[92:93], v[144:145]
	v_mul_f64 v[160:161], v[116:117], v[66:67]
	v_add_f64 v[116:117], v[0:1], v[148:149]
	v_add_f64 v[0:1], v[144:145], v[148:149]
	v_fmac_f64_e32 v[92:93], -0.5, v[0:1]
	v_add_f64 v[0:1], v[146:147], -v[150:151]
	v_fma_f64 v[120:121], s[0:1], v[0:1], v[92:93]
	v_fmac_f64_e32 v[92:93], s[10:11], v[0:1]
	v_add_f64 v[0:1], v[94:95], v[146:147]
	v_fmac_f64_e32 v[160:161], v[118:119], v[64:65]
	v_add_f64 v[118:119], v[0:1], v[150:151]
	v_add_f64 v[0:1], v[146:147], v[150:151]
	v_fmac_f64_e32 v[94:95], -0.5, v[0:1]
	v_add_f64 v[0:1], v[144:145], -v[148:149]
	v_mul_f64 v[156:157], v[124:125], v[70:71]
	v_add_f64 v[88:89], v[88:89], v[122:123]
	v_fma_f64 v[122:123], s[10:11], v[0:1], v[94:95]
	v_fmac_f64_e32 v[94:95], s[0:1], v[0:1]
	v_add_f64 v[0:1], v[100:101], v[154:155]
	v_fmac_f64_e32 v[156:157], v[126:127], v[68:69]
	v_add_f64 v[124:125], v[0:1], v[158:159]
	v_add_f64 v[0:1], v[154:155], v[158:159]
	v_fmac_f64_e32 v[100:101], -0.5, v[0:1]
	v_add_f64 v[0:1], v[156:157], -v[160:161]
	v_mul_f64 v[164:165], v[128:129], v[78:79]
	v_fma_f64 v[128:129], s[0:1], v[0:1], v[100:101]
	v_fmac_f64_e32 v[100:101], s[10:11], v[0:1]
	v_add_f64 v[0:1], v[102:103], v[156:157]
	v_add_f64 v[126:127], v[0:1], v[160:161]
	;; [unrolled: 1-line block ×3, first 2 shown]
	v_fmac_f64_e32 v[102:103], -0.5, v[0:1]
	v_add_f64 v[0:1], v[154:155], -v[158:159]
	v_fmac_f64_e32 v[164:165], v[130:131], v[76:77]
	v_mul_f64 v[168:169], v[132:133], v[74:75]
	v_fma_f64 v[130:131], s[10:11], v[0:1], v[102:103]
	v_fmac_f64_e32 v[102:103], s[0:1], v[0:1]
	v_add_f64 v[0:1], v[108:109], v[162:163]
	v_fmac_f64_e32 v[168:169], v[134:135], v[72:73]
	v_add_f64 v[132:133], v[0:1], v[166:167]
	v_add_f64 v[0:1], v[162:163], v[166:167]
	v_fmac_f64_e32 v[108:109], -0.5, v[0:1]
	v_add_f64 v[0:1], v[164:165], -v[168:169]
	v_fma_f64 v[136:137], s[0:1], v[0:1], v[108:109]
	v_fmac_f64_e32 v[108:109], s[10:11], v[0:1]
	v_add_f64 v[0:1], v[110:111], v[164:165]
	v_add_f64 v[134:135], v[0:1], v[168:169]
	;; [unrolled: 1-line block ×3, first 2 shown]
	v_fmac_f64_e32 v[110:111], -0.5, v[0:1]
	v_add_f64 v[0:1], v[162:163], -v[166:167]
	v_fma_f64 v[138:139], s[10:11], v[0:1], v[110:111]
	v_fmac_f64_e32 v[110:111], s[0:1], v[0:1]
	v_lshl_add_u32 v154, v194, 4, v249
	v_add_u32_e32 v0, v192, v249
	ds_write_b128 v154, v[88:91]
	ds_write_b128 v154, v[96:99] offset:1360
	ds_write_b128 v154, v[80:83] offset:2720
	;; [unrolled: 1-line block ×14, first 2 shown]
	s_waitcnt lgkmcnt(0)
	; wave barrier
	s_waitcnt lgkmcnt(0)
	s_and_saveexec_b64 s[0:1], vcc
	s_cbranch_execz .LBB0_9
; %bb.8:
	global_load_dwordx4 v[144:147], v192, s[2:3] offset:4080
	ds_read_b128 v[140:143], v154
	s_add_u32 s10, s2, 0xff0
	s_addc_u32 s11, s3, 0
	s_waitcnt vmcnt(0) lgkmcnt(0)
	v_mul_f64 v[2:3], v[142:143], v[146:147]
	v_mul_f64 v[158:159], v[140:141], v[146:147]
	v_fma_f64 v[156:157], v[140:141], v[144:145], -v[2:3]
	v_fmac_f64_e32 v[158:159], v[142:143], v[144:145]
	global_load_dwordx4 v[144:147], v192, s[10:11] offset:240
	ds_read_b128 v[140:143], v154 offset:240
	ds_write_b128 v154, v[156:159]
	s_waitcnt vmcnt(0) lgkmcnt(1)
	v_mul_f64 v[2:3], v[142:143], v[146:147]
	v_mul_f64 v[158:159], v[140:141], v[146:147]
	v_fma_f64 v[156:157], v[140:141], v[144:145], -v[2:3]
	v_fmac_f64_e32 v[158:159], v[142:143], v[144:145]
	global_load_dwordx4 v[144:147], v192, s[10:11] offset:480
	ds_read_b128 v[140:143], v154 offset:480
	ds_write_b128 v154, v[156:159] offset:240
	s_waitcnt vmcnt(0) lgkmcnt(1)
	v_mul_f64 v[2:3], v[142:143], v[146:147]
	v_mul_f64 v[158:159], v[140:141], v[146:147]
	v_fma_f64 v[156:157], v[140:141], v[144:145], -v[2:3]
	v_fmac_f64_e32 v[158:159], v[142:143], v[144:145]
	global_load_dwordx4 v[144:147], v192, s[10:11] offset:720
	ds_read_b128 v[140:143], v154 offset:720
	ds_write_b128 v154, v[156:159] offset:480
	;; [unrolled: 8-line block ×15, first 2 shown]
	s_waitcnt vmcnt(0) lgkmcnt(1)
	v_mul_f64 v[2:3], v[142:143], v[146:147]
	v_mul_f64 v[158:159], v[140:141], v[146:147]
	v_fma_f64 v[156:157], v[140:141], v[144:145], -v[2:3]
	v_fmac_f64_e32 v[158:159], v[142:143], v[144:145]
	ds_write_b128 v154, v[156:159] offset:3840
.LBB0_9:
	s_or_b64 exec, exec, s[0:1]
	s_waitcnt lgkmcnt(0)
	; wave barrier
	s_waitcnt lgkmcnt(0)
	s_and_saveexec_b64 s[0:1], vcc
	s_cbranch_execz .LBB0_11
; %bb.10:
	ds_read_b128 v[88:91], v154
	ds_read_b128 v[96:99], v154 offset:240
	ds_read_b128 v[80:83], v154 offset:480
	;; [unrolled: 1-line block ×16, first 2 shown]
.LBB0_11:
	s_or_b64 exec, exec, s[0:1]
	v_add_u32_e32 v144, 0x220, v0
	v_add_u32_e32 v143, 0x330, v0
	;; [unrolled: 1-line block ×3, first 2 shown]
	s_waitcnt lgkmcnt(0)
	; wave barrier
	s_waitcnt lgkmcnt(0)
	s_and_saveexec_b64 s[0:1], vcc
	s_cbranch_execz .LBB0_13
; %bb.12:
	v_accvgpr_read_b32 v47, a7
	s_mov_b32 s34, 0xacd6c6b4
	v_accvgpr_read_b32 v45, a5
	v_accvgpr_read_b32 v44, a4
	s_mov_b32 s38, 0x5d8e7cdc
	v_add_f64 v[242:243], v[96:97], -v[250:251]
	s_mov_b32 s35, 0xbfc7851a
	s_mov_b32 s28, 0x7faef3
	;; [unrolled: 1-line block ×3, first 2 shown]
	v_accvgpr_read_b32 v46, a6
	v_add_f64 v[240:241], v[80:81], -v[44:45]
	s_mov_b32 s39, 0x3fd71e95
	s_mov_b32 s24, 0x370991
	v_mul_f64 v[168:169], v[242:243], s[34:35]
	v_add_f64 v[218:219], v[98:99], v[252:253]
	s_mov_b32 s29, 0xbfef7484
	v_accvgpr_write_b32 a4, v170
	s_mov_b32 s44, 0x2a9d6da3
	v_add_f64 v[232:233], v[104:105], -v[108:109]
	s_mov_b32 s31, 0xbfe0d888
	s_mov_b32 s22, 0x910ea3b9
	v_mul_f64 v[164:165], v[240:241], s[38:39]
	v_add_f64 v[214:215], v[82:83], v[46:47]
	s_mov_b32 s25, 0x3fedd6d0
	v_accvgpr_write_b32 a5, v171
	v_accvgpr_write_b32 a6, v172
	;; [unrolled: 1-line block ×3, first 2 shown]
	v_fma_f64 v[170:171], s[28:29], v[218:219], v[168:169]
	s_mov_b32 s26, 0x6c9a05f6
	v_add_f64 v[220:221], v[112:113], -v[136:137]
	s_mov_b32 s45, 0x3fe58eea
	s_mov_b32 s18, 0x75d4884
	v_mul_f64 v[160:161], v[232:233], s[30:31]
	v_add_f64 v[210:211], v[106:107], v[110:111]
	s_mov_b32 s23, 0xbfeb34fa
	v_fma_f64 v[166:167], s[24:25], v[214:215], v[164:165]
	v_add_f64 v[170:171], v[90:91], v[170:171]
	s_mov_b32 s36, 0x7c9e640b
	v_add_f64 v[216:217], v[84:85], -v[132:133]
	s_mov_b32 s27, 0xbfe9895b
	s_mov_b32 s16, 0x6ed5f1bb
	v_mul_f64 v[156:157], v[220:221], s[44:45]
	v_add_f64 v[206:207], v[114:115], v[138:139]
	s_mov_b32 s19, 0x3fe7a5f6
	v_fma_f64 v[162:163], s[22:23], v[210:211], v[160:161]
	v_add_f64 v[166:167], v[166:167], v[170:171]
	;; [unrolled: 9-line block ×3, first 2 shown]
	s_mov_b32 s48, 0xeb564b22
	v_add_f64 v[208:209], v[120:121], -v[128:129]
	s_mov_b32 s21, 0xbfeec746
	s_mov_b32 s12, 0xc61f0d01
	v_accvgpr_write_b32 a30, v144
	v_mul_f64 v[144:145], v[212:213], s[36:37]
	v_add_f64 v[200:201], v[118:119], v[102:103]
	s_mov_b32 s15, 0x3fdc86fa
	v_fma_f64 v[150:151], s[16:17], v[202:203], v[148:149]
	v_add_f64 v[158:159], v[158:159], v[162:163]
	v_add_f64 v[204:205], v[92:93], -v[124:125]
	s_mov_b32 s49, 0x3fefdd0d
	s_mov_b32 s10, 0x3259b75e
	v_mul_f64 v[140:141], v[208:209], s[20:21]
	v_add_f64 v[198:199], v[122:123], v[130:131]
	s_mov_b32 s13, 0xbfd183b1
	v_fma_f64 v[146:147], s[14:15], v[200:201], v[144:145]
	v_add_f64 v[150:151], v[150:151], v[158:159]
	v_accvgpr_write_b32 a20, v40
	v_mul_f64 v[2:3], v[204:205], s[48:49]
	v_add_f64 v[196:197], v[94:95], v[126:127]
	s_mov_b32 s11, 0x3fb79ee6
	v_accvgpr_write_b32 a28, v142
	v_accvgpr_write_b32 a29, v143
	v_fma_f64 v[142:143], s[12:13], v[198:199], v[140:141]
	v_add_f64 v[146:147], v[146:147], v[150:151]
	v_accvgpr_write_b32 a21, v41
	v_accvgpr_write_b32 a22, v42
	;; [unrolled: 1-line block ×3, first 2 shown]
	v_mov_b64_e32 v[40:41], v[250:251]
	v_fma_f64 v[0:1], s[10:11], v[196:197], v[2:3]
	v_add_f64 v[142:143], v[142:143], v[146:147]
	v_mov_b64_e32 v[42:43], v[252:253]
	v_add_f64 v[6:7], v[0:1], v[142:143]
	v_add_f64 v[0:1], v[98:99], -v[42:43]
	v_accvgpr_write_b32 a1, v192
	v_accvgpr_write_b32 a3, v193
	v_add_f64 v[192:193], v[82:83], -v[46:47]
	v_add_f64 v[238:239], v[96:97], v[40:41]
	v_mul_f64 v[186:187], v[0:1], s[34:35]
	v_add_f64 v[254:255], v[106:107], -v[110:111]
	v_add_f64 v[236:237], v[80:81], v[44:45]
	v_mul_f64 v[182:183], v[192:193], s[38:39]
	v_fma_f64 v[188:189], v[238:239], s[28:29], -v[186:187]
	v_add_f64 v[252:253], v[114:115], -v[138:139]
	v_accvgpr_write_b32 a24, v174
	v_add_f64 v[234:235], v[104:105], v[108:109]
	v_mul_f64 v[178:179], v[254:255], s[30:31]
	v_fma_f64 v[184:185], v[236:237], s[24:25], -v[182:183]
	v_add_f64 v[188:189], v[88:89], v[188:189]
	v_add_f64 v[250:251], v[86:87], -v[134:135]
	v_add_f64 v[230:231], v[112:113], v[136:137]
	v_accvgpr_write_b32 a25, v175
	v_accvgpr_write_b32 a26, v176
	;; [unrolled: 1-line block ×3, first 2 shown]
	v_mul_f64 v[174:175], v[252:253], s[44:45]
	v_fma_f64 v[180:181], v[234:235], s[22:23], -v[178:179]
	v_add_f64 v[184:185], v[184:185], v[188:189]
	v_accvgpr_write_b32 a2, v248
	v_mov_b32_e32 v155, v249
	v_add_f64 v[248:249], v[118:119], -v[102:103]
	v_add_f64 v[228:229], v[84:85], v[132:133]
	v_mul_f64 v[170:171], v[250:251], s[26:27]
	v_fma_f64 v[176:177], v[230:231], s[18:19], -v[174:175]
	v_add_f64 v[180:181], v[180:181], v[184:185]
	v_add_f64 v[246:247], v[122:123], -v[130:131]
	v_add_f64 v[226:227], v[116:117], v[100:101]
	v_mul_f64 v[162:163], v[248:249], s[36:37]
	v_fma_f64 v[172:173], v[228:229], s[16:17], -v[170:171]
	v_add_f64 v[176:177], v[176:177], v[180:181]
	;; [unrolled: 5-line block ×3, first 2 shown]
	v_add_f64 v[222:223], v[92:93], v[124:125]
	v_mul_f64 v[142:143], v[244:245], s[48:49]
	v_fma_f64 v[158:159], v[224:225], s[12:13], -v[150:151]
	v_add_f64 v[166:167], v[166:167], v[172:173]
	v_fma_f64 v[146:147], v[222:223], s[10:11], -v[142:143]
	v_add_f64 v[158:159], v[158:159], v[166:167]
	v_add_f64 v[4:5], v[146:147], v[158:159]
	v_fma_f64 v[146:147], v[202:203], s[16:17], -v[148:149]
	v_fma_f64 v[148:149], v[206:207], s[18:19], -v[156:157]
	;; [unrolled: 1-line block ×5, first 2 shown]
	v_add_f64 v[160:161], v[90:91], v[160:161]
	v_add_f64 v[158:159], v[158:159], v[160:161]
	;; [unrolled: 1-line block ×4, first 2 shown]
	v_fma_f64 v[144:145], v[200:201], s[14:15], -v[144:145]
	v_add_f64 v[146:147], v[146:147], v[148:149]
	v_fma_f64 v[140:141], v[198:199], s[12:13], -v[140:141]
	v_add_f64 v[144:145], v[144:145], v[146:147]
	v_accvgpr_write_b32 a35, v7
	v_fma_f64 v[2:3], v[196:197], s[10:11], -v[2:3]
	v_add_f64 v[140:141], v[140:141], v[144:145]
	v_fmac_f64_e32 v[186:187], s[28:29], v[238:239]
	v_accvgpr_write_b32 a34, v6
	v_accvgpr_write_b32 a33, v5
	;; [unrolled: 1-line block ×3, first 2 shown]
	v_add_f64 v[4:5], v[2:3], v[140:141]
	v_fmac_f64_e32 v[182:183], s[24:25], v[236:237]
	v_add_f64 v[2:3], v[88:89], v[186:187]
	v_fmac_f64_e32 v[178:179], s[22:23], v[234:235]
	;; [unrolled: 2-line block ×4, first 2 shown]
	v_add_f64 v[2:3], v[174:175], v[2:3]
	v_add_f64 v[2:3], v[170:171], v[2:3]
	v_mul_f64 v[170:171], v[242:243], s[30:31]
	v_fmac_f64_e32 v[162:163], s[14:15], v[226:227]
	s_mov_b32 s43, 0xbfefdd0d
	s_mov_b32 s42, s48
	v_mul_f64 v[166:167], v[240:241], s[36:37]
	v_fma_f64 v[172:173], s[22:23], v[218:219], v[170:171]
	v_add_f64 v[2:3], v[162:163], v[2:3]
	s_mov_b32 s55, 0x3fe9895b
	s_mov_b32 s54, s26
	v_mul_f64 v[162:163], v[232:233], s[42:43]
	v_fma_f64 v[168:169], s[14:15], v[214:215], v[166:167]
	v_add_f64 v[172:173], v[90:91], v[172:173]
	v_mul_f64 v[188:189], v[0:1], s[30:31]
	v_fmac_f64_e32 v[150:151], s[12:13], v[224:225]
	s_mov_b32 s41, 0xbfd71e95
	s_mov_b32 s40, s38
	v_mul_f64 v[158:159], v[220:221], s[54:55]
	v_fma_f64 v[164:165], s[10:11], v[210:211], v[162:163]
	v_add_f64 v[168:169], v[168:169], v[172:173]
	v_mul_f64 v[184:185], v[192:193], s[36:37]
	v_fma_f64 v[190:191], v[238:239], s[22:23], -v[188:189]
	v_add_f64 v[2:3], v[150:151], v[2:3]
	v_mul_f64 v[150:151], v[216:217], s[40:41]
	v_fma_f64 v[160:161], s[16:17], v[206:207], v[158:159]
	v_add_f64 v[164:165], v[164:165], v[168:169]
	v_mul_f64 v[180:181], v[254:255], s[42:43]
	v_fma_f64 v[186:187], v[236:237], s[14:15], -v[184:185]
	v_add_f64 v[190:191], v[88:89], v[190:191]
	v_fmac_f64_e32 v[142:143], s[10:11], v[222:223]
	v_mul_f64 v[148:149], v[212:213], s[34:35]
	v_fma_f64 v[156:157], s[24:25], v[202:203], v[150:151]
	v_add_f64 v[160:161], v[160:161], v[164:165]
	v_mul_f64 v[176:177], v[252:253], s[54:55]
	v_fma_f64 v[182:183], v[234:235], s[10:11], -v[180:181]
	v_add_f64 v[186:187], v[186:187], v[190:191]
	v_add_f64 v[2:3], v[142:143], v[2:3]
	v_accvgpr_write_b32 a39, v5
	v_mul_f64 v[142:143], v[208:209], s[44:45]
	v_fma_f64 v[146:147], s[28:29], v[200:201], v[148:149]
	v_add_f64 v[156:157], v[156:157], v[160:161]
	v_mul_f64 v[172:173], v[250:251], s[40:41]
	v_fma_f64 v[178:179], v[230:231], s[16:17], -v[176:177]
	v_add_f64 v[182:183], v[182:183], v[186:187]
	v_accvgpr_write_b32 a38, v4
	v_accvgpr_write_b32 a37, v3
	;; [unrolled: 1-line block ×3, first 2 shown]
	v_mul_f64 v[2:3], v[204:205], s[20:21]
	v_fma_f64 v[144:145], s[18:19], v[198:199], v[142:143]
	v_add_f64 v[146:147], v[146:147], v[156:157]
	v_mul_f64 v[164:165], v[248:249], s[34:35]
	v_fma_f64 v[174:175], v[228:229], s[24:25], -v[172:173]
	v_add_f64 v[178:179], v[178:179], v[182:183]
	v_fma_f64 v[140:141], s[12:13], v[196:197], v[2:3]
	v_add_f64 v[144:145], v[144:145], v[146:147]
	v_mul_f64 v[156:157], v[246:247], s[44:45]
	v_fma_f64 v[168:169], v[226:227], s[28:29], -v[164:165]
	v_add_f64 v[174:175], v[174:175], v[178:179]
	v_add_f64 v[6:7], v[140:141], v[144:145]
	v_mul_f64 v[140:141], v[244:245], s[20:21]
	v_fma_f64 v[160:161], v[224:225], s[18:19], -v[156:157]
	v_add_f64 v[168:169], v[168:169], v[174:175]
	v_fma_f64 v[144:145], v[222:223], s[12:13], -v[140:141]
	v_add_f64 v[160:161], v[160:161], v[168:169]
	v_add_f64 v[4:5], v[144:145], v[160:161]
	v_fma_f64 v[160:161], v[210:211], s[10:11], -v[162:163]
	v_fma_f64 v[162:163], v[214:215], s[14:15], -v[166:167]
	v_fma_f64 v[166:167], v[218:219], s[22:23], -v[170:171]
	v_add_f64 v[166:167], v[90:91], v[166:167]
	v_add_f64 v[162:163], v[162:163], v[166:167]
	v_fma_f64 v[158:159], v[206:207], s[16:17], -v[158:159]
	v_add_f64 v[160:161], v[160:161], v[162:163]
	v_fma_f64 v[150:151], v[202:203], s[24:25], -v[150:151]
	;; [unrolled: 2-line block ×4, first 2 shown]
	v_add_f64 v[148:149], v[148:149], v[150:151]
	v_accvgpr_write_b32 a43, v7
	v_fma_f64 v[2:3], v[196:197], s[12:13], -v[2:3]
	v_add_f64 v[142:143], v[142:143], v[148:149]
	v_fmac_f64_e32 v[188:189], s[22:23], v[238:239]
	v_accvgpr_write_b32 a42, v6
	v_accvgpr_write_b32 a41, v5
	;; [unrolled: 1-line block ×3, first 2 shown]
	v_add_f64 v[4:5], v[2:3], v[142:143]
	v_fmac_f64_e32 v[184:185], s[14:15], v[236:237]
	v_add_f64 v[2:3], v[88:89], v[188:189]
	v_fmac_f64_e32 v[180:181], s[10:11], v[234:235]
	;; [unrolled: 2-line block ×6, first 2 shown]
	v_add_f64 v[2:3], v[164:165], v[2:3]
	s_mov_b32 s53, 0x3feec746
	s_mov_b32 s52, s20
	v_mul_f64 v[178:179], v[242:243], s[26:27]
	v_fmac_f64_e32 v[140:141], s[12:13], v[222:223]
	v_add_f64 v[2:3], v[156:157], v[2:3]
	v_mul_f64 v[174:175], v[240:241], s[52:53]
	v_fma_f64 v[180:181], s[16:17], v[218:219], v[178:179]
	v_add_f64 v[2:3], v[140:141], v[2:3]
	v_accvgpr_write_b32 a47, v5
	v_mul_f64 v[170:171], v[232:233], s[40:41]
	v_fma_f64 v[176:177], s[12:13], v[214:215], v[174:175]
	v_add_f64 v[180:181], v[90:91], v[180:181]
	v_accvgpr_write_b32 a0, v194
	v_mul_f64 v[194:195], v[0:1], s[26:27]
	v_accvgpr_write_b32 a46, v4
	v_accvgpr_write_b32 a45, v3
	;; [unrolled: 1-line block ×3, first 2 shown]
	v_mul_f64 v[166:167], v[220:221], s[30:31]
	v_fma_f64 v[172:173], s[24:25], v[210:211], v[170:171]
	v_add_f64 v[176:177], v[176:177], v[180:181]
	v_mul_f64 v[4:5], v[192:193], s[52:53]
	v_fma_f64 v[144:145], v[238:239], s[16:17], -v[194:195]
	s_mov_b32 s47, 0xbfe58eea
	s_mov_b32 s46, s44
	v_mul_f64 v[162:163], v[216:217], s[48:49]
	v_fma_f64 v[168:169], s[22:23], v[206:207], v[166:167]
	v_add_f64 v[172:173], v[172:173], v[176:177]
	v_mul_f64 v[188:189], v[254:255], s[40:41]
	v_fma_f64 v[6:7], v[236:237], s[12:13], -v[4:5]
	v_add_f64 v[144:145], v[88:89], v[144:145]
	v_mul_f64 v[160:161], v[212:213], s[46:47]
	v_fma_f64 v[164:165], s[10:11], v[202:203], v[162:163]
	v_add_f64 v[168:169], v[168:169], v[172:173]
	v_mul_f64 v[184:185], v[252:253], s[30:31]
	v_fma_f64 v[190:191], v[234:235], s[24:25], -v[188:189]
	v_add_f64 v[6:7], v[6:7], v[144:145]
	;; [unrolled: 6-line block ×4, first 2 shown]
	v_fma_f64 v[148:149], s[14:15], v[196:197], v[2:3]
	v_add_f64 v[156:157], v[156:157], v[158:159]
	v_mul_f64 v[164:165], v[246:247], s[34:35]
	v_fma_f64 v[176:177], v[226:227], s[18:19], -v[172:173]
	v_add_f64 v[6:7], v[182:183], v[6:7]
	v_add_f64 v[26:27], v[148:149], v[156:157]
	v_mul_f64 v[148:149], v[244:245], s[36:37]
	v_fma_f64 v[168:169], v[224:225], s[28:29], -v[164:165]
	v_add_f64 v[6:7], v[176:177], v[6:7]
	v_fma_f64 v[156:157], v[222:223], s[14:15], -v[148:149]
	v_add_f64 v[6:7], v[168:169], v[6:7]
	v_add_f64 v[24:25], v[156:157], v[6:7]
	v_fma_f64 v[6:7], v[198:199], s[28:29], -v[150:151]
	v_fma_f64 v[150:151], v[206:207], s[22:23], -v[166:167]
	;; [unrolled: 1-line block ×5, first 2 shown]
	v_add_f64 v[166:167], v[90:91], v[166:167]
	v_fma_f64 v[144:145], v[200:201], s[18:19], -v[160:161]
	v_fma_f64 v[160:161], v[210:211], s[24:25], -v[170:171]
	v_add_f64 v[162:163], v[162:163], v[166:167]
	v_add_f64 v[160:161], v[160:161], v[162:163]
	;; [unrolled: 1-line block ×5, first 2 shown]
	v_fma_f64 v[2:3], v[196:197], s[14:15], -v[2:3]
	v_add_f64 v[6:7], v[6:7], v[144:145]
	v_fmac_f64_e32 v[194:195], s[16:17], v[238:239]
	v_add_f64 v[6:7], v[2:3], v[6:7]
	v_fmac_f64_e32 v[4:5], s[12:13], v[236:237]
	;; [unrolled: 2-line block ×5, first 2 shown]
	v_add_f64 v[2:3], v[184:185], v[2:3]
	s_mov_b32 s57, 0x3fe0d888
	s_mov_b32 s56, s30
	v_mul_f64 v[178:179], v[242:243], s[20:21]
	v_accvgpr_write_b32 a51, v27
	v_add_f64 v[2:3], v[180:181], v[2:3]
	v_mul_f64 v[174:175], v[240:241], s[56:57]
	v_fma_f64 v[180:181], s[12:13], v[218:219], v[178:179]
	v_accvgpr_write_b32 a50, v26
	v_accvgpr_write_b32 a49, v25
	;; [unrolled: 1-line block ×3, first 2 shown]
	v_fmac_f64_e32 v[172:173], s[18:19], v[226:227]
	s_mov_b32 s51, 0xbfeca52d
	s_mov_b32 s50, s36
	v_mul_f64 v[170:171], v[232:233], s[44:45]
	v_fma_f64 v[176:177], s[22:23], v[214:215], v[174:175]
	v_add_f64 v[180:181], v[90:91], v[180:181]
	v_mul_f64 v[26:27], v[0:1], s[20:21]
	v_fmac_f64_e32 v[164:165], s[28:29], v[224:225]
	v_add_f64 v[2:3], v[172:173], v[2:3]
	v_mul_f64 v[168:169], v[220:221], s[50:51]
	v_fma_f64 v[172:173], s[18:19], v[210:211], v[170:171]
	v_add_f64 v[176:177], v[176:177], v[180:181]
	v_mul_f64 v[194:195], v[192:193], s[56:57]
	v_fma_f64 v[140:141], v[238:239], s[12:13], -v[26:27]
	v_fmac_f64_e32 v[148:149], s[14:15], v[222:223]
	v_add_f64 v[2:3], v[164:165], v[2:3]
	v_mul_f64 v[150:151], v[216:217], s[34:35]
	v_fma_f64 v[166:167], s[14:15], v[206:207], v[168:169]
	v_add_f64 v[172:173], v[172:173], v[176:177]
	v_mul_f64 v[188:189], v[254:255], s[44:45]
	v_fma_f64 v[24:25], v[236:237], s[22:23], -v[194:195]
	v_add_f64 v[140:141], v[88:89], v[140:141]
	v_add_f64 v[4:5], v[148:149], v[2:3]
	v_accvgpr_write_b32 a55, v7
	v_mul_f64 v[146:147], v[212:213], s[48:49]
	v_fma_f64 v[164:165], s[28:29], v[202:203], v[150:151]
	v_add_f64 v[166:167], v[166:167], v[172:173]
	v_mul_f64 v[184:185], v[252:253], s[50:51]
	v_fma_f64 v[190:191], v[234:235], s[18:19], -v[188:189]
	v_add_f64 v[24:25], v[24:25], v[140:141]
	v_accvgpr_write_b32 a54, v6
	v_accvgpr_write_b32 a53, v5
	;; [unrolled: 1-line block ×3, first 2 shown]
	v_mul_f64 v[6:7], v[208:209], s[40:41]
	v_fma_f64 v[148:149], s[10:11], v[200:201], v[146:147]
	v_add_f64 v[164:165], v[164:165], v[166:167]
	v_mul_f64 v[180:181], v[250:251], s[34:35]
	v_fma_f64 v[186:187], v[230:231], s[14:15], -v[184:185]
	v_add_f64 v[24:25], v[190:191], v[24:25]
	v_mul_f64 v[2:3], v[204:205], s[26:27]
	v_fma_f64 v[144:145], s[24:25], v[198:199], v[6:7]
	v_add_f64 v[148:149], v[148:149], v[164:165]
	v_mul_f64 v[172:173], v[248:249], s[48:49]
	v_fma_f64 v[182:183], v[228:229], s[28:29], -v[180:181]
	v_add_f64 v[24:25], v[186:187], v[24:25]
	v_fma_f64 v[4:5], s[16:17], v[196:197], v[2:3]
	v_add_f64 v[144:145], v[144:145], v[148:149]
	v_mul_f64 v[148:149], v[246:247], s[40:41]
	v_fma_f64 v[176:177], v[226:227], s[10:11], -v[172:173]
	v_add_f64 v[24:25], v[182:183], v[24:25]
	v_add_f64 v[142:143], v[4:5], v[144:145]
	v_mul_f64 v[4:5], v[244:245], s[26:27]
	v_fma_f64 v[164:165], v[224:225], s[24:25], -v[148:149]
	v_add_f64 v[24:25], v[176:177], v[24:25]
	v_fma_f64 v[144:145], v[222:223], s[16:17], -v[4:5]
	v_add_f64 v[24:25], v[164:165], v[24:25]
	v_add_f64 v[140:141], v[144:145], v[24:25]
	v_accvgpr_write_b32 a56, v140
	v_accvgpr_write_b32 a57, v141
	;; [unrolled: 1-line block ×4, first 2 shown]
	v_fma_f64 v[140:141], v[202:203], s[28:29], -v[150:151]
	v_fma_f64 v[150:151], v[218:219], s[12:13], -v[178:179]
	;; [unrolled: 1-line block ×4, first 2 shown]
	v_add_f64 v[150:151], v[90:91], v[150:151]
	v_fma_f64 v[144:145], v[210:211], s[18:19], -v[170:171]
	v_add_f64 v[146:147], v[146:147], v[150:151]
	v_fma_f64 v[142:143], v[206:207], s[14:15], -v[168:169]
	v_add_f64 v[144:145], v[144:145], v[146:147]
	v_add_f64 v[142:143], v[142:143], v[144:145]
	;; [unrolled: 1-line block ×3, first 2 shown]
	v_fma_f64 v[6:7], v[198:199], s[24:25], -v[6:7]
	v_add_f64 v[24:25], v[24:25], v[140:141]
	v_fma_f64 v[2:3], v[196:197], s[16:17], -v[2:3]
	v_add_f64 v[6:7], v[6:7], v[24:25]
	v_fmac_f64_e32 v[26:27], s[12:13], v[238:239]
	v_add_f64 v[170:171], v[2:3], v[6:7]
	v_fmac_f64_e32 v[194:195], s[22:23], v[236:237]
	;; [unrolled: 2-line block ×5, first 2 shown]
	v_add_f64 v[2:3], v[184:185], v[2:3]
	v_mul_f64 v[178:179], v[242:243], s[42:43]
	v_add_f64 v[2:3], v[180:181], v[2:3]
	v_mul_f64 v[176:177], v[240:241], s[34:35]
	v_fma_f64 v[180:181], s[10:11], v[218:219], v[178:179]
	v_accvgpr_write_b32 a8, v28
	v_fmac_f64_e32 v[172:173], s[10:11], v[226:227]
	v_mul_f64 v[150:151], v[232:233], s[52:53]
	v_fma_f64 v[174:175], s[28:29], v[214:215], v[176:177]
	v_add_f64 v[180:181], v[90:91], v[180:181]
	v_accvgpr_write_b32 a9, v29
	v_accvgpr_write_b32 a10, v30
	v_accvgpr_write_b32 a11, v31
	v_mul_f64 v[30:31], v[0:1], s[42:43]
	v_fmac_f64_e32 v[148:149], s[24:25], v[224:225]
	v_add_f64 v[2:3], v[172:173], v[2:3]
	v_mul_f64 v[146:147], v[220:221], s[38:39]
	v_fma_f64 v[172:173], s[12:13], v[210:211], v[150:151]
	v_add_f64 v[174:175], v[174:175], v[180:181]
	v_mul_f64 v[194:195], v[192:193], s[34:35]
	v_fma_f64 v[156:157], v[238:239], s[10:11], -v[30:31]
	v_add_f64 v[2:3], v[148:149], v[2:3]
	v_mul_f64 v[142:143], v[216:217], s[50:51]
	v_fma_f64 v[148:149], s[24:25], v[206:207], v[146:147]
	v_add_f64 v[172:173], v[172:173], v[174:175]
	v_mul_f64 v[188:189], v[254:255], s[52:53]
	v_fma_f64 v[28:29], v[236:237], s[28:29], -v[194:195]
	;; [unrolled: 6-line block ×3, first 2 shown]
	v_add_f64 v[28:29], v[28:29], v[156:157]
	v_fmac_f64_e32 v[4:5], s[16:17], v[222:223]
	v_mul_f64 v[6:7], v[208:209], s[54:55]
	v_fma_f64 v[140:141], s[22:23], v[200:201], v[26:27]
	v_add_f64 v[144:145], v[144:145], v[148:149]
	v_mul_f64 v[180:181], v[250:251], s[50:51]
	v_fma_f64 v[186:187], v[230:231], s[24:25], -v[184:185]
	v_add_f64 v[28:29], v[190:191], v[28:29]
	v_add_f64 v[168:169], v[4:5], v[2:3]
	v_mul_f64 v[2:3], v[204:205], s[44:45]
	v_fma_f64 v[24:25], s[16:17], v[198:199], v[6:7]
	v_add_f64 v[140:141], v[140:141], v[144:145]
	v_mul_f64 v[148:149], v[248:249], s[30:31]
	v_fma_f64 v[182:183], v[228:229], s[14:15], -v[180:181]
	v_add_f64 v[28:29], v[186:187], v[28:29]
	v_fma_f64 v[4:5], s[18:19], v[196:197], v[2:3]
	v_add_f64 v[24:25], v[24:25], v[140:141]
	v_mul_f64 v[140:141], v[246:247], s[54:55]
	v_fma_f64 v[172:173], v[226:227], s[22:23], -v[148:149]
	v_add_f64 v[28:29], v[182:183], v[28:29]
	v_add_f64 v[174:175], v[4:5], v[24:25]
	v_mul_f64 v[4:5], v[244:245], s[44:45]
	v_fma_f64 v[144:145], v[224:225], s[16:17], -v[140:141]
	v_add_f64 v[28:29], v[172:173], v[28:29]
	v_fma_f64 v[24:25], v[222:223], s[18:19], -v[4:5]
	v_add_f64 v[28:29], v[144:145], v[28:29]
	v_add_f64 v[172:173], v[24:25], v[28:29]
	v_fma_f64 v[28:29], v[206:207], s[24:25], -v[146:147]
	v_fma_f64 v[146:147], v[218:219], s[10:11], -v[178:179]
	;; [unrolled: 1-line block ×3, first 2 shown]
	v_add_f64 v[146:147], v[90:91], v[146:147]
	v_fma_f64 v[24:25], v[200:201], s[22:23], -v[26:27]
	v_fma_f64 v[26:27], v[202:203], s[14:15], -v[142:143]
	;; [unrolled: 1-line block ×3, first 2 shown]
	v_add_f64 v[144:145], v[144:145], v[146:147]
	v_add_f64 v[142:143], v[142:143], v[144:145]
	;; [unrolled: 1-line block ×4, first 2 shown]
	v_fma_f64 v[6:7], v[198:199], s[16:17], -v[6:7]
	v_add_f64 v[24:25], v[24:25], v[26:27]
	v_fma_f64 v[2:3], v[196:197], s[18:19], -v[2:3]
	v_add_f64 v[6:7], v[6:7], v[24:25]
	v_fmac_f64_e32 v[30:31], s[10:11], v[238:239]
	v_add_f64 v[178:179], v[2:3], v[6:7]
	v_fmac_f64_e32 v[194:195], s[28:29], v[236:237]
	;; [unrolled: 2-line block ×5, first 2 shown]
	v_add_f64 v[2:3], v[184:185], v[2:3]
	v_mul_f64 v[158:159], v[242:243], s[50:51]
	v_add_f64 v[2:3], v[180:181], v[2:3]
	s_mov_b32 s49, 0x3fc7851a
	s_mov_b32 s48, s34
	v_mul_f64 v[150:151], v[240:241], s[26:27]
	v_fma_f64 v[180:181], s[14:15], v[218:219], v[158:159]
	v_accvgpr_write_b32 a12, v32
	v_fmac_f64_e32 v[148:149], s[22:23], v[226:227]
	v_mul_f64 v[146:147], v[232:233], s[48:49]
	v_fma_f64 v[156:157], s[16:17], v[214:215], v[150:151]
	v_add_f64 v[180:181], v[90:91], v[180:181]
	v_accvgpr_write_b32 a13, v33
	v_accvgpr_write_b32 a14, v34
	;; [unrolled: 1-line block ×3, first 2 shown]
	v_mul_f64 v[34:35], v[0:1], s[50:51]
	v_add_f64 v[2:3], v[148:149], v[2:3]
	v_mul_f64 v[142:143], v[220:221], s[52:53]
	v_fma_f64 v[148:149], s[28:29], v[210:211], v[146:147]
	v_add_f64 v[156:157], v[156:157], v[180:181]
	v_mul_f64 v[194:195], v[192:193], s[26:27]
	v_fma_f64 v[160:161], v[238:239], s[14:15], -v[34:35]
	v_fmac_f64_e32 v[140:141], s[16:17], v[224:225]
	v_mul_f64 v[30:31], v[216:217], s[44:45]
	v_fma_f64 v[144:145], s[12:13], v[206:207], v[142:143]
	v_add_f64 v[148:149], v[148:149], v[156:157]
	v_mul_f64 v[188:189], v[254:255], s[48:49]
	v_fma_f64 v[32:33], v[236:237], s[16:17], -v[194:195]
	v_add_f64 v[160:161], v[88:89], v[160:161]
	v_add_f64 v[2:3], v[140:141], v[2:3]
	v_mul_f64 v[26:27], v[212:213], s[40:41]
	v_fma_f64 v[140:141], s[18:19], v[202:203], v[30:31]
	v_add_f64 v[144:145], v[144:145], v[148:149]
	v_mul_f64 v[184:185], v[252:253], s[52:53]
	v_fma_f64 v[190:191], v[234:235], s[28:29], -v[188:189]
	v_add_f64 v[32:33], v[32:33], v[160:161]
	v_fmac_f64_e32 v[4:5], s[18:19], v[222:223]
	v_mul_f64 v[6:7], v[208:209], s[42:43]
	v_fma_f64 v[28:29], s[24:25], v[200:201], v[26:27]
	v_add_f64 v[140:141], v[140:141], v[144:145]
	v_mul_f64 v[156:157], v[250:251], s[44:45]
	v_fma_f64 v[186:187], v[230:231], s[12:13], -v[184:185]
	v_add_f64 v[32:33], v[190:191], v[32:33]
	v_add_f64 v[176:177], v[4:5], v[2:3]
	v_mul_f64 v[2:3], v[204:205], s[30:31]
	v_fma_f64 v[24:25], s[10:11], v[198:199], v[6:7]
	v_add_f64 v[28:29], v[28:29], v[140:141]
	v_mul_f64 v[144:145], v[248:249], s[40:41]
	v_fma_f64 v[180:181], v[228:229], s[18:19], -v[156:157]
	v_add_f64 v[32:33], v[186:187], v[32:33]
	v_fma_f64 v[4:5], s[22:23], v[196:197], v[2:3]
	v_add_f64 v[24:25], v[24:25], v[28:29]
	v_mul_f64 v[28:29], v[246:247], s[42:43]
	v_fma_f64 v[148:149], v[226:227], s[24:25], -v[144:145]
	v_add_f64 v[32:33], v[180:181], v[32:33]
	v_add_f64 v[182:183], v[4:5], v[24:25]
	v_mul_f64 v[4:5], v[244:245], s[30:31]
	v_fma_f64 v[140:141], v[224:225], s[10:11], -v[28:29]
	v_add_f64 v[32:33], v[148:149], v[32:33]
	v_fma_f64 v[24:25], v[222:223], s[22:23], -v[4:5]
	v_add_f64 v[32:33], v[140:141], v[32:33]
	v_add_f64 v[180:181], v[24:25], v[32:33]
	v_fma_f64 v[24:25], v[200:201], s[24:25], -v[26:27]
	v_fma_f64 v[26:27], v[202:203], s[18:19], -v[30:31]
	;; [unrolled: 1-line block ×5, first 2 shown]
	v_add_f64 v[142:143], v[90:91], v[142:143]
	v_fma_f64 v[32:33], v[210:211], s[28:29], -v[146:147]
	v_add_f64 v[140:141], v[140:141], v[142:143]
	v_add_f64 v[32:33], v[32:33], v[140:141]
	;; [unrolled: 1-line block ×4, first 2 shown]
	v_fma_f64 v[6:7], v[198:199], s[10:11], -v[6:7]
	v_add_f64 v[24:25], v[24:25], v[26:27]
	v_fma_f64 v[2:3], v[196:197], s[22:23], -v[2:3]
	v_add_f64 v[6:7], v[6:7], v[24:25]
	v_fmac_f64_e32 v[34:35], s[14:15], v[238:239]
	v_add_f64 v[190:191], v[2:3], v[6:7]
	v_fmac_f64_e32 v[194:195], s[16:17], v[236:237]
	;; [unrolled: 2-line block ×5, first 2 shown]
	v_add_f64 v[2:3], v[184:185], v[2:3]
	v_mul_f64 v[150:151], v[242:243], s[46:47]
	v_add_f64 v[2:3], v[156:157], v[2:3]
	v_mul_f64 v[146:147], v[240:241], s[42:43]
	v_fma_f64 v[156:157], s[18:19], v[218:219], v[150:151]
	v_accvgpr_write_b32 a16, v36
	v_fmac_f64_e32 v[144:145], s[24:25], v[226:227]
	v_mul_f64 v[142:143], v[232:233], s[26:27]
	v_fma_f64 v[148:149], s[10:11], v[214:215], v[146:147]
	v_add_f64 v[156:157], v[90:91], v[156:157]
	v_accvgpr_write_b32 a17, v37
	v_accvgpr_write_b32 a18, v38
	;; [unrolled: 1-line block ×3, first 2 shown]
	v_mul_f64 v[38:39], v[0:1], s[46:47]
	v_add_f64 v[2:3], v[144:145], v[2:3]
	v_mul_f64 v[34:35], v[220:221], s[34:35]
	v_fma_f64 v[144:145], s[16:17], v[210:211], v[142:143]
	v_add_f64 v[148:149], v[148:149], v[156:157]
	v_mul_f64 v[194:195], v[192:193], s[42:43]
	v_fma_f64 v[164:165], v[238:239], s[18:19], -v[38:39]
	v_mul_f64 v[30:31], v[216:217], s[56:57]
	v_fma_f64 v[140:141], s[28:29], v[206:207], v[34:35]
	v_add_f64 v[144:145], v[144:145], v[148:149]
	v_mul_f64 v[162:163], v[254:255], s[26:27]
	v_fma_f64 v[36:37], v[236:237], s[10:11], -v[194:195]
	v_add_f64 v[164:165], v[88:89], v[164:165]
	v_fmac_f64_e32 v[28:29], s[10:11], v[224:225]
	v_mul_f64 v[26:27], v[212:213], s[52:53]
	v_fma_f64 v[32:33], s[22:23], v[202:203], v[30:31]
	v_add_f64 v[140:141], v[140:141], v[144:145]
	v_mul_f64 v[158:159], v[252:253], s[34:35]
	v_fma_f64 v[184:185], v[234:235], s[16:17], -v[162:163]
	v_add_f64 v[36:37], v[36:37], v[164:165]
	v_fmac_f64_e32 v[4:5], s[22:23], v[222:223]
	v_add_f64 v[2:3], v[28:29], v[2:3]
	v_mul_f64 v[6:7], v[208:209], s[36:37]
	v_fma_f64 v[28:29], s[12:13], v[200:201], v[26:27]
	v_add_f64 v[32:33], v[32:33], v[140:141]
	v_mul_f64 v[148:149], v[250:251], s[56:57]
	v_fma_f64 v[160:161], v[230:231], s[28:29], -v[158:159]
	v_add_f64 v[36:37], v[184:185], v[36:37]
	v_add_f64 v[188:189], v[4:5], v[2:3]
	v_mul_f64 v[2:3], v[204:205], s[38:39]
	v_fma_f64 v[24:25], s[14:15], v[198:199], v[6:7]
	v_add_f64 v[28:29], v[28:29], v[32:33]
	v_mul_f64 v[140:141], v[248:249], s[52:53]
	v_fma_f64 v[156:157], v[228:229], s[22:23], -v[148:149]
	v_add_f64 v[36:37], v[160:161], v[36:37]
	v_fma_f64 v[4:5], s[24:25], v[196:197], v[2:3]
	v_add_f64 v[24:25], v[24:25], v[28:29]
	v_mul_f64 v[28:29], v[246:247], s[36:37]
	v_fma_f64 v[144:145], v[226:227], s[12:13], -v[140:141]
	v_add_f64 v[36:37], v[156:157], v[36:37]
	v_add_f64 v[186:187], v[4:5], v[24:25]
	v_mul_f64 v[4:5], v[244:245], s[38:39]
	v_fma_f64 v[32:33], v[224:225], s[14:15], -v[28:29]
	v_add_f64 v[36:37], v[144:145], v[36:37]
	v_fma_f64 v[24:25], v[222:223], s[24:25], -v[4:5]
	v_add_f64 v[32:33], v[32:33], v[36:37]
	;; [unrolled: 2-line block ×3, first 2 shown]
	v_fma_f64 v[24:25], v[200:201], s[12:13], -v[26:27]
	v_fma_f64 v[26:27], v[202:203], s[22:23], -v[30:31]
	;; [unrolled: 1-line block ×4, first 2 shown]
	v_add_f64 v[36:37], v[90:91], v[36:37]
	v_fma_f64 v[32:33], v[210:211], s[16:17], -v[142:143]
	v_add_f64 v[34:35], v[34:35], v[36:37]
	v_add_f64 v[32:33], v[32:33], v[34:35]
	;; [unrolled: 1-line block ×4, first 2 shown]
	v_fma_f64 v[6:7], v[198:199], s[14:15], -v[6:7]
	v_add_f64 v[24:25], v[24:25], v[26:27]
	v_fma_f64 v[2:3], v[196:197], s[24:25], -v[2:3]
	v_add_f64 v[6:7], v[6:7], v[24:25]
	v_fmac_f64_e32 v[38:39], s[18:19], v[238:239]
	v_add_f64 v[150:151], v[2:3], v[6:7]
	v_fmac_f64_e32 v[194:195], s[10:11], v[236:237]
	;; [unrolled: 2-line block ×7, first 2 shown]
	v_add_f64 v[2:3], v[140:141], v[2:3]
	v_mul_f64 v[146:147], v[242:243], s[40:41]
	v_fmac_f64_e32 v[4:5], s[24:25], v[222:223]
	v_add_f64 v[2:3], v[28:29], v[2:3]
	v_mul_f64 v[142:143], v[240:241], s[46:47]
	v_fma_f64 v[156:157], s[24:25], v[218:219], v[146:147]
	v_add_f64 v[148:149], v[4:5], v[2:3]
	v_mul_f64 v[4:5], v[204:205], s[34:35]
	v_mul_f64 v[38:39], v[232:233], s[50:51]
	v_fma_f64 v[144:145], s[18:19], v[214:215], v[142:143]
	v_add_f64 v[156:157], v[90:91], v[156:157]
	v_mul_f64 v[204:205], v[0:1], s[40:41]
	;; [unrolled: 4-line block ×3, first 2 shown]
	v_fma_f64 v[0:1], v[238:239], s[24:25], -v[204:205]
	v_mul_f64 v[30:31], v[216:217], s[20:21]
	v_fma_f64 v[36:37], s[10:11], v[206:207], v[34:35]
	v_add_f64 v[140:141], v[140:141], v[144:145]
	v_mul_f64 v[164:165], v[254:255], s[50:51]
	v_fma_f64 v[194:195], v[236:237], s[18:19], -v[192:193]
	v_add_f64 v[0:1], v[88:89], v[0:1]
	v_mul_f64 v[26:27], v[212:213], s[26:27]
	v_fma_f64 v[32:33], s[12:13], v[202:203], v[30:31]
	v_add_f64 v[36:37], v[36:37], v[140:141]
	v_mul_f64 v[160:161], v[252:253], s[42:43]
	v_fma_f64 v[166:167], v[234:235], s[14:15], -v[164:165]
	v_add_f64 v[0:1], v[194:195], v[0:1]
	;; [unrolled: 6-line block ×3, first 2 shown]
	v_fma_f64 v[24:25], s[22:23], v[198:199], v[6:7]
	v_add_f64 v[28:29], v[28:29], v[32:33]
	v_mul_f64 v[140:141], v[248:249], s[26:27]
	v_fma_f64 v[158:159], v[228:229], s[12:13], -v[156:157]
	v_add_f64 v[0:1], v[162:163], v[0:1]
	v_fma_f64 v[2:3], s[28:29], v[196:197], v[4:5]
	v_add_f64 v[24:25], v[24:25], v[28:29]
	v_mul_f64 v[32:33], v[246:247], s[30:31]
	v_fma_f64 v[144:145], v[226:227], s[16:17], -v[140:141]
	v_add_f64 v[0:1], v[158:159], v[0:1]
	v_add_f64 v[2:3], v[2:3], v[24:25]
	v_mul_f64 v[24:25], v[244:245], s[34:35]
	v_fma_f64 v[36:37], v[224:225], s[22:23], -v[32:33]
	v_add_f64 v[0:1], v[144:145], v[0:1]
	v_fma_f64 v[28:29], v[222:223], s[28:29], -v[24:25]
	v_add_f64 v[0:1], v[36:37], v[0:1]
	v_add_f64 v[0:1], v[28:29], v[0:1]
	v_fma_f64 v[28:29], v[202:203], s[12:13], -v[30:31]
	v_fma_f64 v[30:31], v[206:207], s[10:11], -v[34:35]
	v_fma_f64 v[34:35], v[210:211], s[14:15], -v[38:39]
	v_fma_f64 v[38:39], v[218:219], s[24:25], -v[146:147]
	v_fma_f64 v[36:37], v[214:215], s[18:19], -v[142:143]
	v_add_f64 v[38:39], v[90:91], v[38:39]
	v_add_f64 v[36:37], v[36:37], v[38:39]
	;; [unrolled: 1-line block ×4, first 2 shown]
	v_fma_f64 v[26:27], v[200:201], s[16:17], -v[26:27]
	v_add_f64 v[28:29], v[28:29], v[30:31]
	v_fma_f64 v[6:7], v[198:199], s[22:23], -v[6:7]
	v_add_f64 v[26:27], v[26:27], v[28:29]
	;; [unrolled: 2-line block ×3, first 2 shown]
	v_fmac_f64_e32 v[204:205], s[24:25], v[238:239]
	v_add_f64 v[198:199], v[4:5], v[6:7]
	v_fmac_f64_e32 v[192:193], s[18:19], v[236:237]
	v_add_f64 v[4:5], v[88:89], v[204:205]
	;; [unrolled: 2-line block ×8, first 2 shown]
	v_add_f64 v[196:197], v[24:25], v[4:5]
	v_add_f64 v[4:5], v[90:91], v[98:99]
	;; [unrolled: 1-line block ×30, first 2 shown]
	v_accvgpr_read_b32 v194, a0
	v_add_f64 v[4:5], v[4:5], v[108:109]
	v_add_f64 v[4:5], v[4:5], v[44:45]
	v_mul_lo_u16_e32 v24, 17, v194
	v_add_f64 v[4:5], v[4:5], v[40:41]
	v_lshl_add_u32 v24, v24, 4, v155
	v_accvgpr_read_b32 v39, a19
	v_accvgpr_read_b32 v31, a11
	;; [unrolled: 1-line block ×4, first 2 shown]
	ds_write_b128 v24, v[4:7]
	ds_write_b128 v24, v[196:199] offset:16
	ds_write_b128 v24, v[148:151] offset:32
	;; [unrolled: 1-line block ×13, first 2 shown]
	v_accvgpr_read_b32 v177, a27
	v_accvgpr_read_b32 v173, a7
	;; [unrolled: 1-line block ×26, first 2 shown]
	ds_write_b128 v24, v[180:183] offset:224
	ds_write_b128 v24, v[184:187] offset:240
	;; [unrolled: 1-line block ×3, first 2 shown]
.LBB0_13:
	s_or_b64 exec, exec, s[0:1]
	s_waitcnt lgkmcnt(0)
	; wave barrier
	s_waitcnt lgkmcnt(0)
	ds_read_b128 v[0:3], v152
	ds_read_b128 v[4:7], v152 offset:272
	ds_read_b128 v[84:87], v152 offset:1632
	;; [unrolled: 1-line block ×14, first 2 shown]
	s_waitcnt lgkmcnt(8)
	v_mul_f64 v[26:27], v[22:23], v[102:103]
	v_mul_f64 v[24:25], v[22:23], v[100:101]
	v_fmac_f64_e32 v[26:27], v[20:21], v[100:101]
	v_fma_f64 v[100:101], v[20:21], v[102:103], -v[24:25]
	v_mul_f64 v[24:25], v[18:19], v[84:85]
	v_mul_f64 v[102:103], v[18:19], v[86:87]
	v_fma_f64 v[86:87], v[16:17], v[86:87], -v[24:25]
	s_waitcnt lgkmcnt(4)
	v_mul_f64 v[132:133], v[14:15], v[114:115]
	v_mul_f64 v[24:25], v[14:15], v[112:113]
	s_waitcnt lgkmcnt(2)
	v_mul_f64 v[138:139], v[14:15], v[122:123]
	v_mul_f64 v[14:15], v[14:15], v[120:121]
	v_fmac_f64_e32 v[132:133], v[12:13], v[112:113]
	v_fma_f64 v[112:113], v[12:13], v[114:115], -v[24:25]
	v_mul_f64 v[114:115], v[10:11], v[94:95]
	v_mul_f64 v[24:25], v[10:11], v[92:93]
	v_fmac_f64_e32 v[138:139], v[12:13], v[120:121]
	v_fma_f64 v[120:121], v[12:13], v[122:123], -v[14:15]
	v_mul_f64 v[122:123], v[10:11], v[98:99]
	v_mul_f64 v[10:11], v[10:11], v[96:97]
	v_fmac_f64_e32 v[102:103], v[16:17], v[84:85]
	v_fmac_f64_e32 v[114:115], v[8:9], v[92:93]
	v_fma_f64 v[92:93], v[8:9], v[94:95], -v[24:25]
	v_fmac_f64_e32 v[122:123], v[8:9], v[96:97]
	v_fma_f64 v[140:141], v[8:9], v[98:99], -v[10:11]
	v_mul_f64 v[84:85], v[38:39], v[110:111]
	v_mul_f64 v[8:9], v[38:39], v[108:109]
	v_fmac_f64_e32 v[84:85], v[36:37], v[108:109]
	v_fma_f64 v[36:37], v[36:37], v[110:111], -v[8:9]
	v_mul_f64 v[38:39], v[34:35], v[118:119]
	v_mul_f64 v[8:9], v[34:35], v[116:117]
	v_fmac_f64_e32 v[38:39], v[32:33], v[116:117]
	v_fma_f64 v[32:33], v[32:33], v[118:119], -v[8:9]
	s_waitcnt lgkmcnt(1)
	v_mul_f64 v[34:35], v[30:31], v[126:127]
	v_mul_f64 v[8:9], v[30:31], v[124:125]
	v_fmac_f64_e32 v[34:35], v[28:29], v[124:125]
	v_fma_f64 v[28:29], v[28:29], v[126:127], -v[8:9]
	s_waitcnt lgkmcnt(0)
	v_mul_f64 v[8:9], v[172:173], v[128:129]
	v_fma_f64 v[24:25], v[170:171], v[130:131], -v[8:9]
	v_add_f64 v[8:9], v[0:1], v[26:27]
	v_add_f64 v[8:9], v[8:9], v[102:103]
	;; [unrolled: 1-line block ×3, first 2 shown]
	v_mul_f64 v[134:135], v[22:23], v[106:107]
	v_mul_f64 v[22:23], v[22:23], v[104:105]
	v_add_f64 v[12:13], v[8:9], v[114:115]
	v_add_f64 v[8:9], v[102:103], v[132:133]
	s_mov_b32 s10, 0x134454ff
	v_fmac_f64_e32 v[134:135], v[20:21], v[104:105]
	v_fma_f64 v[104:105], v[20:21], v[106:107], -v[22:23]
	v_mul_f64 v[106:107], v[18:19], v[90:91]
	v_mul_f64 v[18:19], v[18:19], v[88:89]
	v_fma_f64 v[8:9], -0.5, v[8:9], v[0:1]
	v_add_f64 v[10:11], v[100:101], -v[92:93]
	s_mov_b32 s11, 0xbfee6f0e
	s_mov_b32 s0, 0x4755a5e
	;; [unrolled: 1-line block ×4, first 2 shown]
	v_fmac_f64_e32 v[106:107], v[16:17], v[88:89]
	v_fma_f64 v[136:137], v[16:17], v[90:91], -v[18:19]
	v_fma_f64 v[16:17], s[10:11], v[10:11], v[8:9]
	v_add_f64 v[14:15], v[86:87], -v[112:113]
	s_mov_b32 s1, 0xbfe2cf23
	v_add_f64 v[18:19], v[26:27], -v[102:103]
	v_add_f64 v[20:21], v[114:115], -v[132:133]
	s_mov_b32 s12, 0x372fe950
	v_fmac_f64_e32 v[8:9], s[14:15], v[10:11]
	s_mov_b32 s17, 0x3fe2cf23
	s_mov_b32 s16, s0
	v_fmac_f64_e32 v[16:17], s[0:1], v[14:15]
	v_add_f64 v[18:19], v[18:19], v[20:21]
	s_mov_b32 s13, 0x3fd3c6ef
	v_fmac_f64_e32 v[8:9], s[16:17], v[14:15]
	v_fmac_f64_e32 v[16:17], s[12:13], v[18:19]
	;; [unrolled: 1-line block ×3, first 2 shown]
	v_add_f64 v[18:19], v[26:27], v[114:115]
	v_fmac_f64_e32 v[0:1], -0.5, v[18:19]
	v_fma_f64 v[20:21], s[14:15], v[14:15], v[0:1]
	v_fmac_f64_e32 v[0:1], s[10:11], v[14:15]
	v_fmac_f64_e32 v[20:21], s[0:1], v[10:11]
	;; [unrolled: 1-line block ×3, first 2 shown]
	v_add_f64 v[10:11], v[2:3], v[100:101]
	v_add_f64 v[10:11], v[10:11], v[86:87]
	;; [unrolled: 1-line block ×3, first 2 shown]
	v_add_f64 v[18:19], v[102:103], -v[26:27]
	v_add_f64 v[22:23], v[132:133], -v[114:115]
	v_add_f64 v[14:15], v[10:11], v[92:93]
	v_add_f64 v[10:11], v[86:87], v[112:113]
	;; [unrolled: 1-line block ×3, first 2 shown]
	v_fma_f64 v[10:11], -0.5, v[10:11], v[2:3]
	v_add_f64 v[26:27], v[26:27], -v[114:115]
	v_fmac_f64_e32 v[20:21], s[12:13], v[18:19]
	v_fmac_f64_e32 v[0:1], s[12:13], v[18:19]
	v_fma_f64 v[18:19], s[14:15], v[26:27], v[10:11]
	v_add_f64 v[88:89], v[102:103], -v[132:133]
	v_add_f64 v[22:23], v[100:101], -v[86:87]
	v_add_f64 v[90:91], v[92:93], -v[112:113]
	v_fmac_f64_e32 v[10:11], s[10:11], v[26:27]
	v_fmac_f64_e32 v[18:19], s[16:17], v[88:89]
	v_add_f64 v[22:23], v[22:23], v[90:91]
	v_fmac_f64_e32 v[10:11], s[0:1], v[88:89]
	v_fmac_f64_e32 v[18:19], s[12:13], v[22:23]
	;; [unrolled: 1-line block ×3, first 2 shown]
	v_add_f64 v[22:23], v[100:101], v[92:93]
	v_fmac_f64_e32 v[2:3], -0.5, v[22:23]
	v_fma_f64 v[22:23], s[10:11], v[88:89], v[2:3]
	v_fmac_f64_e32 v[2:3], s[14:15], v[88:89]
	v_fmac_f64_e32 v[22:23], s[16:17], v[26:27]
	;; [unrolled: 1-line block ×3, first 2 shown]
	v_add_f64 v[26:27], v[4:5], v[134:135]
	v_add_f64 v[86:87], v[86:87], -v[100:101]
	v_add_f64 v[90:91], v[112:113], -v[92:93]
	v_add_f64 v[26:27], v[26:27], v[106:107]
	v_add_f64 v[86:87], v[86:87], v[90:91]
	;; [unrolled: 1-line block ×3, first 2 shown]
	v_fmac_f64_e32 v[22:23], s[12:13], v[86:87]
	v_fmac_f64_e32 v[2:3], s[12:13], v[86:87]
	v_add_f64 v[86:87], v[26:27], v[122:123]
	v_add_f64 v[26:27], v[106:107], v[138:139]
	v_fma_f64 v[90:91], -0.5, v[26:27], v[4:5]
	v_add_f64 v[26:27], v[104:105], -v[140:141]
	v_fma_f64 v[94:95], s[10:11], v[26:27], v[90:91]
	v_add_f64 v[88:89], v[136:137], -v[120:121]
	v_add_f64 v[92:93], v[134:135], -v[106:107]
	;; [unrolled: 1-line block ×3, first 2 shown]
	v_fmac_f64_e32 v[90:91], s[14:15], v[26:27]
	v_fmac_f64_e32 v[94:95], s[0:1], v[88:89]
	v_add_f64 v[92:93], v[92:93], v[96:97]
	v_fmac_f64_e32 v[90:91], s[16:17], v[88:89]
	v_fmac_f64_e32 v[94:95], s[12:13], v[92:93]
	;; [unrolled: 1-line block ×3, first 2 shown]
	v_add_f64 v[92:93], v[134:135], v[122:123]
	v_fmac_f64_e32 v[4:5], -0.5, v[92:93]
	v_fma_f64 v[98:99], s[14:15], v[88:89], v[4:5]
	v_fmac_f64_e32 v[4:5], s[10:11], v[88:89]
	v_fmac_f64_e32 v[98:99], s[0:1], v[26:27]
	v_fmac_f64_e32 v[4:5], s[16:17], v[26:27]
	v_add_f64 v[26:27], v[6:7], v[104:105]
	v_add_f64 v[26:27], v[26:27], v[136:137]
	v_add_f64 v[92:93], v[106:107], -v[134:135]
	v_add_f64 v[96:97], v[138:139], -v[122:123]
	v_add_f64 v[26:27], v[26:27], v[120:121]
	v_add_f64 v[92:93], v[92:93], v[96:97]
	;; [unrolled: 1-line block ×4, first 2 shown]
	v_fmac_f64_e32 v[98:99], s[12:13], v[92:93]
	v_fmac_f64_e32 v[4:5], s[12:13], v[92:93]
	v_fma_f64 v[92:93], -0.5, v[26:27], v[6:7]
	v_add_f64 v[26:27], v[134:135], -v[122:123]
	v_fma_f64 v[96:97], s[14:15], v[26:27], v[92:93]
	v_add_f64 v[102:103], v[106:107], -v[138:139]
	v_add_f64 v[100:101], v[104:105], -v[136:137]
	;; [unrolled: 1-line block ×3, first 2 shown]
	v_fmac_f64_e32 v[92:93], s[10:11], v[26:27]
	v_fmac_f64_e32 v[96:97], s[16:17], v[102:103]
	v_add_f64 v[100:101], v[100:101], v[106:107]
	v_fmac_f64_e32 v[92:93], s[0:1], v[102:103]
	v_fmac_f64_e32 v[96:97], s[12:13], v[100:101]
	;; [unrolled: 1-line block ×3, first 2 shown]
	v_add_f64 v[100:101], v[104:105], v[140:141]
	v_fmac_f64_e32 v[6:7], -0.5, v[100:101]
	v_fma_f64 v[100:101], s[10:11], v[102:103], v[6:7]
	v_fmac_f64_e32 v[6:7], s[14:15], v[102:103]
	v_fmac_f64_e32 v[100:101], s[16:17], v[26:27]
	v_fmac_f64_e32 v[6:7], s[0:1], v[26:27]
	v_add_f64 v[26:27], v[80:81], v[84:85]
	v_mul_f64 v[30:31], v[172:173], v[130:131]
	v_add_f64 v[26:27], v[26:27], v[38:39]
	v_fmac_f64_e32 v[30:31], v[170:171], v[128:129]
	v_add_f64 v[26:27], v[26:27], v[34:35]
	v_add_f64 v[104:105], v[136:137], -v[104:105]
	v_add_f64 v[106:107], v[120:121], -v[140:141]
	v_add_f64 v[102:103], v[26:27], v[30:31]
	v_add_f64 v[26:27], v[38:39], v[34:35]
	;; [unrolled: 1-line block ×3, first 2 shown]
	v_fma_f64 v[106:107], -0.5, v[26:27], v[80:81]
	v_add_f64 v[26:27], v[36:37], -v[24:25]
	v_fmac_f64_e32 v[100:101], s[12:13], v[104:105]
	v_fmac_f64_e32 v[6:7], s[12:13], v[104:105]
	v_fma_f64 v[110:111], s[10:11], v[26:27], v[106:107]
	v_add_f64 v[104:105], v[32:33], -v[28:29]
	v_add_f64 v[108:109], v[84:85], -v[38:39]
	;; [unrolled: 1-line block ×3, first 2 shown]
	v_fmac_f64_e32 v[106:107], s[14:15], v[26:27]
	v_fmac_f64_e32 v[110:111], s[0:1], v[104:105]
	v_add_f64 v[108:109], v[108:109], v[112:113]
	v_fmac_f64_e32 v[106:107], s[16:17], v[104:105]
	v_fmac_f64_e32 v[110:111], s[12:13], v[108:109]
	;; [unrolled: 1-line block ×3, first 2 shown]
	v_add_f64 v[108:109], v[84:85], v[30:31]
	v_fmac_f64_e32 v[80:81], -0.5, v[108:109]
	v_fma_f64 v[114:115], s[14:15], v[104:105], v[80:81]
	v_fmac_f64_e32 v[80:81], s[10:11], v[104:105]
	v_fmac_f64_e32 v[114:115], s[0:1], v[26:27]
	;; [unrolled: 1-line block ×3, first 2 shown]
	v_add_f64 v[26:27], v[82:83], v[36:37]
	v_add_f64 v[26:27], v[26:27], v[32:33]
	v_add_f64 v[108:109], v[38:39], -v[84:85]
	v_add_f64 v[112:113], v[34:35], -v[30:31]
	v_add_f64 v[26:27], v[26:27], v[28:29]
	v_add_f64 v[108:109], v[108:109], v[112:113]
	;; [unrolled: 1-line block ×4, first 2 shown]
	v_fmac_f64_e32 v[114:115], s[12:13], v[108:109]
	v_fmac_f64_e32 v[80:81], s[12:13], v[108:109]
	v_fma_f64 v[108:109], -0.5, v[26:27], v[82:83]
	v_add_f64 v[26:27], v[84:85], -v[30:31]
	v_fma_f64 v[112:113], s[14:15], v[26:27], v[108:109]
	v_add_f64 v[30:31], v[38:39], -v[34:35]
	v_add_f64 v[34:35], v[36:37], -v[32:33]
	;; [unrolled: 1-line block ×3, first 2 shown]
	v_fmac_f64_e32 v[108:109], s[10:11], v[26:27]
	v_fmac_f64_e32 v[112:113], s[16:17], v[30:31]
	v_add_f64 v[34:35], v[34:35], v[38:39]
	v_fmac_f64_e32 v[108:109], s[0:1], v[30:31]
	v_fmac_f64_e32 v[112:113], s[12:13], v[34:35]
	v_fmac_f64_e32 v[108:109], s[12:13], v[34:35]
	v_add_f64 v[34:35], v[36:37], v[24:25]
	v_fmac_f64_e32 v[82:83], -0.5, v[34:35]
	v_fma_f64 v[116:117], s[10:11], v[30:31], v[82:83]
	v_add_f64 v[32:33], v[32:33], -v[36:37]
	v_add_f64 v[24:25], v[28:29], -v[24:25]
	v_fmac_f64_e32 v[82:83], s[14:15], v[30:31]
	v_add_f64 v[24:25], v[32:33], v[24:25]
	v_fmac_f64_e32 v[82:83], s[0:1], v[26:27]
	v_fmac_f64_e32 v[116:117], s[16:17], v[26:27]
	;; [unrolled: 1-line block ×4, first 2 shown]
	s_waitcnt lgkmcnt(0)
	; wave barrier
	ds_write_b128 v152, v[12:15]
	ds_write_b128 v152, v[16:19] offset:272
	ds_write_b128 v152, v[20:23] offset:544
	;; [unrolled: 1-line block ×14, first 2 shown]
	s_waitcnt lgkmcnt(0)
	; wave barrier
	s_waitcnt lgkmcnt(0)
	ds_read_b128 v[0:3], v152
	ds_read_b128 v[4:7], v152 offset:272
	ds_read_b128 v[20:23], v152 offset:2720
	;; [unrolled: 1-line block ×14, first 2 shown]
	s_waitcnt lgkmcnt(4)
	v_mul_f64 v[46:47], v[176:177], v[84:85]
	v_fma_f64 v[44:45], v[174:175], v[86:87], -v[46:47]
	v_mul_f64 v[46:47], v[42:43], v[22:23]
	v_fmac_f64_e32 v[46:47], v[40:41], v[20:21]
	v_mul_f64 v[20:21], v[42:43], v[20:21]
	v_fma_f64 v[40:41], v[40:41], v[22:23], -v[20:21]
	v_mul_f64 v[42:43], v[54:55], v[30:31]
	v_mul_f64 v[20:21], v[54:55], v[28:29]
	v_fmac_f64_e32 v[42:43], v[52:53], v[28:29]
	v_fma_f64 v[52:53], v[52:53], v[30:31], -v[20:21]
	v_mul_f64 v[54:55], v[50:51], v[26:27]
	v_mul_f64 v[20:21], v[50:51], v[24:25]
	v_fmac_f64_e32 v[54:55], v[48:49], v[24:25]
	v_fma_f64 v[48:49], v[48:49], v[26:27], -v[20:21]
	v_mul_f64 v[50:51], v[62:63], v[34:35]
	v_mul_f64 v[20:21], v[62:63], v[32:33]
	v_fmac_f64_e32 v[50:51], v[60:61], v[32:33]
	v_fma_f64 v[60:61], v[60:61], v[34:35], -v[20:21]
	v_mul_f64 v[62:63], v[58:59], v[38:39]
	v_mul_f64 v[20:21], v[58:59], v[36:37]
	v_fmac_f64_e32 v[62:63], v[56:57], v[36:37]
	v_fma_f64 v[56:57], v[56:57], v[38:39], -v[20:21]
	s_waitcnt lgkmcnt(2)
	v_mul_f64 v[58:59], v[70:71], v[90:91]
	v_mul_f64 v[20:21], v[70:71], v[88:89]
	;; [unrolled: 1-line block ×3, first 2 shown]
	v_fmac_f64_e32 v[58:59], v[68:69], v[88:89]
	v_fma_f64 v[68:69], v[68:69], v[90:91], -v[20:21]
	v_mul_f64 v[70:71], v[66:67], v[82:83]
	v_mul_f64 v[20:21], v[66:67], v[80:81]
	v_fmac_f64_e32 v[100:101], v[174:175], v[84:85]
	v_fmac_f64_e32 v[70:71], v[64:65], v[80:81]
	v_fma_f64 v[64:65], v[64:65], v[82:83], -v[20:21]
	s_waitcnt lgkmcnt(1)
	v_mul_f64 v[66:67], v[78:79], v[94:95]
	v_mul_f64 v[20:21], v[78:79], v[92:93]
	v_fmac_f64_e32 v[66:67], v[76:77], v[92:93]
	v_fma_f64 v[76:77], v[76:77], v[94:95], -v[20:21]
	s_waitcnt lgkmcnt(0)
	v_mul_f64 v[78:79], v[74:75], v[98:99]
	v_mul_f64 v[20:21], v[74:75], v[96:97]
	v_add_f64 v[22:23], v[100:101], v[46:47]
	s_mov_b32 s0, 0xe8584caa
	v_fmac_f64_e32 v[78:79], v[72:73], v[96:97]
	v_fma_f64 v[72:73], v[72:73], v[98:99], -v[20:21]
	v_add_f64 v[20:21], v[0:1], v[100:101]
	v_fmac_f64_e32 v[0:1], -0.5, v[22:23]
	v_add_f64 v[22:23], v[44:45], -v[40:41]
	s_mov_b32 s1, 0xbfebb67a
	s_mov_b32 s11, 0x3febb67a
	;; [unrolled: 1-line block ×3, first 2 shown]
	v_add_f64 v[26:27], v[44:45], v[40:41]
	v_fma_f64 v[24:25], s[0:1], v[22:23], v[0:1]
	v_fmac_f64_e32 v[0:1], s[10:11], v[22:23]
	v_add_f64 v[22:23], v[2:3], v[44:45]
	v_fmac_f64_e32 v[2:3], -0.5, v[26:27]
	v_add_f64 v[28:29], v[100:101], -v[46:47]
	v_add_f64 v[30:31], v[42:43], v[54:55]
	v_fma_f64 v[26:27], s[10:11], v[28:29], v[2:3]
	v_fmac_f64_e32 v[2:3], s[0:1], v[28:29]
	v_add_f64 v[28:29], v[4:5], v[42:43]
	v_fmac_f64_e32 v[4:5], -0.5, v[30:31]
	v_add_f64 v[30:31], v[52:53], -v[48:49]
	;; [unrolled: 6-line block ×4, first 2 shown]
	v_add_f64 v[42:43], v[60:61], v[56:57]
	v_add_f64 v[20:21], v[20:21], v[46:47]
	;; [unrolled: 1-line block ×3, first 2 shown]
	v_fma_f64 v[40:41], s[0:1], v[38:39], v[8:9]
	v_fmac_f64_e32 v[8:9], s[10:11], v[38:39]
	v_add_f64 v[38:39], v[10:11], v[60:61]
	v_fmac_f64_e32 v[10:11], -0.5, v[42:43]
	v_add_f64 v[44:45], v[50:51], -v[62:63]
	v_add_f64 v[46:47], v[58:59], v[70:71]
	v_fma_f64 v[42:43], s[10:11], v[44:45], v[10:11]
	v_fmac_f64_e32 v[10:11], s[0:1], v[44:45]
	v_add_f64 v[44:45], v[12:13], v[58:59]
	v_fmac_f64_e32 v[12:13], -0.5, v[46:47]
	v_add_f64 v[46:47], v[68:69], -v[64:65]
	v_add_f64 v[50:51], v[68:69], v[64:65]
	v_add_f64 v[28:29], v[28:29], v[54:55]
	;; [unrolled: 1-line block ×3, first 2 shown]
	v_fma_f64 v[48:49], s[0:1], v[46:47], v[12:13]
	v_fmac_f64_e32 v[12:13], s[10:11], v[46:47]
	v_add_f64 v[46:47], v[14:15], v[68:69]
	v_fmac_f64_e32 v[14:15], -0.5, v[50:51]
	v_add_f64 v[52:53], v[58:59], -v[70:71]
	v_add_f64 v[54:55], v[66:67], v[78:79]
	v_fma_f64 v[50:51], s[10:11], v[52:53], v[14:15]
	v_fmac_f64_e32 v[14:15], s[0:1], v[52:53]
	v_add_f64 v[52:53], v[16:17], v[66:67]
	v_fmac_f64_e32 v[16:17], -0.5, v[54:55]
	v_add_f64 v[54:55], v[76:77], -v[72:73]
	v_add_f64 v[58:59], v[76:77], v[72:73]
	v_add_f64 v[38:39], v[38:39], v[56:57]
	v_fma_f64 v[56:57], s[0:1], v[54:55], v[16:17]
	v_fmac_f64_e32 v[16:17], s[10:11], v[54:55]
	v_add_f64 v[54:55], v[18:19], v[76:77]
	v_fmac_f64_e32 v[18:19], -0.5, v[58:59]
	v_add_f64 v[60:61], v[66:67], -v[78:79]
	v_add_f64 v[36:37], v[36:37], v[62:63]
	v_add_f64 v[44:45], v[44:45], v[70:71]
	;; [unrolled: 1-line block ×5, first 2 shown]
	v_fma_f64 v[58:59], s[10:11], v[60:61], v[18:19]
	v_fmac_f64_e32 v[18:19], s[0:1], v[60:61]
	ds_write_b128 v154, v[20:23]
	ds_write_b128 v154, v[24:27] offset:1360
	ds_write_b128 v154, v[0:3] offset:2720
	;; [unrolled: 1-line block ×14, first 2 shown]
	s_waitcnt lgkmcnt(0)
	; wave barrier
	s_waitcnt lgkmcnt(0)
	s_and_b64 exec, exec, vcc
	s_cbranch_execz .LBB0_15
; %bb.14:
	global_load_dwordx4 v[4:7], v192, s[2:3]
	v_mad_u64_u32 v[16:17], s[0:1], s6, v248, 0
	v_mov_b32_e32 v0, s8
	v_mov_b32_e32 v1, s9
	v_mad_u64_u32 v[18:19], s[8:9], s4, v194, 0
	v_lshl_add_u32 v2, v193, 4, v192
	v_mov_b32_e32 v20, v17
	ds_read_b128 v[8:11], v154
	ds_read_b128 v[12:15], v2 offset:240
	v_mov_b32_e32 v22, v19
	v_mad_u64_u32 v[20:21], s[6:7], s7, v248, v[20:21]
	v_mad_u64_u32 v[22:23], s[6:7], s5, v194, v[22:23]
	v_mov_b32_e32 v17, v20
	v_mov_b32_e32 v19, v22
	v_lshl_add_u64 v[0:1], v[16:17], 4, v[0:1]
	s_mov_b32 s0, 0x10101010
	v_lshl_add_u64 v[16:17], v[18:19], 4, v[0:1]
	s_mov_b32 s1, 0x3f701010
	v_mov_b32_e32 v3, 0xf0
	s_mul_i32 s6, s5, 0xf0
	s_waitcnt vmcnt(0) lgkmcnt(1)
	v_mul_f64 v[18:19], v[10:11], v[6:7]
	v_mul_f64 v[6:7], v[8:9], v[6:7]
	v_fmac_f64_e32 v[18:19], v[8:9], v[4:5]
	v_fma_f64 v[6:7], v[4:5], v[10:11], -v[6:7]
	v_mul_f64 v[4:5], v[18:19], s[0:1]
	v_mul_f64 v[6:7], v[6:7], s[0:1]
	global_store_dwordx4 v[16:17], v[4:7], off
	global_load_dwordx4 v[4:7], v192, s[2:3] offset:240
	v_mad_u64_u32 v[16:17], s[8:9], s4, v3, v[16:17]
	v_add_u32_e32 v17, s6, v17
	s_waitcnt vmcnt(0) lgkmcnt(0)
	v_mul_f64 v[8:9], v[14:15], v[6:7]
	v_mul_f64 v[6:7], v[12:13], v[6:7]
	v_fmac_f64_e32 v[8:9], v[12:13], v[4:5]
	v_fma_f64 v[6:7], v[4:5], v[14:15], -v[6:7]
	v_mul_f64 v[4:5], v[8:9], s[0:1]
	v_mul_f64 v[6:7], v[6:7], s[0:1]
	global_store_dwordx4 v[16:17], v[4:7], off
	global_load_dwordx4 v[4:7], v192, s[2:3] offset:480
	ds_read_b128 v[8:11], v2 offset:480
	ds_read_b128 v[12:15], v2 offset:720
	v_mad_u64_u32 v[16:17], s[8:9], s4, v3, v[16:17]
	v_add_u32_e32 v17, s6, v17
	s_waitcnt vmcnt(0) lgkmcnt(1)
	v_mul_f64 v[18:19], v[10:11], v[6:7]
	v_mul_f64 v[6:7], v[8:9], v[6:7]
	v_fmac_f64_e32 v[18:19], v[8:9], v[4:5]
	v_fma_f64 v[6:7], v[4:5], v[10:11], -v[6:7]
	v_mul_f64 v[4:5], v[18:19], s[0:1]
	v_mul_f64 v[6:7], v[6:7], s[0:1]
	global_store_dwordx4 v[16:17], v[4:7], off
	global_load_dwordx4 v[4:7], v192, s[2:3] offset:720
	v_mad_u64_u32 v[16:17], s[8:9], s4, v3, v[16:17]
	v_add_u32_e32 v17, s6, v17
	s_waitcnt vmcnt(0) lgkmcnt(0)
	v_mul_f64 v[8:9], v[14:15], v[6:7]
	v_mul_f64 v[6:7], v[12:13], v[6:7]
	v_fmac_f64_e32 v[8:9], v[12:13], v[4:5]
	v_fma_f64 v[6:7], v[4:5], v[14:15], -v[6:7]
	v_mul_f64 v[4:5], v[8:9], s[0:1]
	v_mul_f64 v[6:7], v[6:7], s[0:1]
	global_store_dwordx4 v[16:17], v[4:7], off
	global_load_dwordx4 v[4:7], v192, s[2:3] offset:960
	ds_read_b128 v[8:11], v2 offset:960
	ds_read_b128 v[12:15], v2 offset:1200
	v_mad_u64_u32 v[16:17], s[8:9], s4, v3, v[16:17]
	v_add_u32_e32 v17, s6, v17
	;; [unrolled: 24-line block ×7, first 2 shown]
	s_waitcnt vmcnt(0) lgkmcnt(1)
	v_mul_f64 v[18:19], v[10:11], v[6:7]
	v_mul_f64 v[6:7], v[8:9], v[6:7]
	v_fmac_f64_e32 v[18:19], v[8:9], v[4:5]
	v_fma_f64 v[6:7], v[4:5], v[10:11], -v[6:7]
	v_mul_f64 v[4:5], v[18:19], s[0:1]
	v_mul_f64 v[6:7], v[6:7], s[0:1]
	global_store_dwordx4 v[16:17], v[4:7], off
	global_load_dwordx4 v[4:7], v192, s[2:3] offset:3600
	v_mad_u64_u32 v[8:9], s[8:9], s4, v3, v[16:17]
	v_add_u32_e32 v9, s6, v9
	v_or_b32_e32 v3, 0xf0, v194
	s_waitcnt vmcnt(0) lgkmcnt(0)
	v_mul_f64 v[10:11], v[14:15], v[6:7]
	v_mul_f64 v[6:7], v[12:13], v[6:7]
	v_fmac_f64_e32 v[10:11], v[12:13], v[4:5]
	v_fma_f64 v[6:7], v[4:5], v[14:15], -v[6:7]
	v_mul_f64 v[4:5], v[10:11], s[0:1]
	v_mul_f64 v[6:7], v[6:7], s[0:1]
	global_store_dwordx4 v[8:9], v[4:7], off
	global_load_dwordx4 v[4:7], v192, s[2:3] offset:3840
	ds_read_b128 v[8:11], v2 offset:3840
	v_mad_u64_u32 v[12:13], s[2:3], s4, v3, 0
	v_mov_b32_e32 v2, v13
	v_mad_u64_u32 v[2:3], s[2:3], s5, v3, v[2:3]
	v_mov_b32_e32 v13, v2
	v_lshl_add_u64 v[0:1], v[12:13], 4, v[0:1]
	s_waitcnt vmcnt(0) lgkmcnt(0)
	v_mul_f64 v[2:3], v[10:11], v[6:7]
	v_mul_f64 v[6:7], v[8:9], v[6:7]
	v_fmac_f64_e32 v[2:3], v[8:9], v[4:5]
	v_fma_f64 v[4:5], v[4:5], v[10:11], -v[6:7]
	v_mul_f64 v[2:3], v[2:3], s[0:1]
	v_mul_f64 v[4:5], v[4:5], s[0:1]
	global_store_dwordx4 v[0:1], v[2:5], off
.LBB0_15:
	s_endpgm
	.section	.rodata,"a",@progbits
	.p2align	6, 0x0
	.amdhsa_kernel bluestein_single_back_len255_dim1_dp_op_CI_CI
		.amdhsa_group_segment_fixed_size 12240
		.amdhsa_private_segment_fixed_size 0
		.amdhsa_kernarg_size 104
		.amdhsa_user_sgpr_count 2
		.amdhsa_user_sgpr_dispatch_ptr 0
		.amdhsa_user_sgpr_queue_ptr 0
		.amdhsa_user_sgpr_kernarg_segment_ptr 1
		.amdhsa_user_sgpr_dispatch_id 0
		.amdhsa_user_sgpr_kernarg_preload_length 0
		.amdhsa_user_sgpr_kernarg_preload_offset 0
		.amdhsa_user_sgpr_private_segment_size 0
		.amdhsa_uses_dynamic_stack 0
		.amdhsa_enable_private_segment 0
		.amdhsa_system_sgpr_workgroup_id_x 1
		.amdhsa_system_sgpr_workgroup_id_y 0
		.amdhsa_system_sgpr_workgroup_id_z 0
		.amdhsa_system_sgpr_workgroup_info 0
		.amdhsa_system_vgpr_workitem_id 0
		.amdhsa_next_free_vgpr 316
		.amdhsa_next_free_sgpr 60
		.amdhsa_accum_offset 256
		.amdhsa_reserve_vcc 1
		.amdhsa_float_round_mode_32 0
		.amdhsa_float_round_mode_16_64 0
		.amdhsa_float_denorm_mode_32 3
		.amdhsa_float_denorm_mode_16_64 3
		.amdhsa_dx10_clamp 1
		.amdhsa_ieee_mode 1
		.amdhsa_fp16_overflow 0
		.amdhsa_tg_split 0
		.amdhsa_exception_fp_ieee_invalid_op 0
		.amdhsa_exception_fp_denorm_src 0
		.amdhsa_exception_fp_ieee_div_zero 0
		.amdhsa_exception_fp_ieee_overflow 0
		.amdhsa_exception_fp_ieee_underflow 0
		.amdhsa_exception_fp_ieee_inexact 0
		.amdhsa_exception_int_div_zero 0
	.end_amdhsa_kernel
	.text
.Lfunc_end0:
	.size	bluestein_single_back_len255_dim1_dp_op_CI_CI, .Lfunc_end0-bluestein_single_back_len255_dim1_dp_op_CI_CI
                                        ; -- End function
	.section	.AMDGPU.csdata,"",@progbits
; Kernel info:
; codeLenInByte = 23552
; NumSgprs: 66
; NumVgprs: 256
; NumAgprs: 60
; TotalNumVgprs: 316
; ScratchSize: 0
; MemoryBound: 0
; FloatMode: 240
; IeeeMode: 1
; LDSByteSize: 12240 bytes/workgroup (compile time only)
; SGPRBlocks: 8
; VGPRBlocks: 39
; NumSGPRsForWavesPerEU: 66
; NumVGPRsForWavesPerEU: 316
; AccumOffset: 256
; Occupancy: 1
; WaveLimiterHint : 1
; COMPUTE_PGM_RSRC2:SCRATCH_EN: 0
; COMPUTE_PGM_RSRC2:USER_SGPR: 2
; COMPUTE_PGM_RSRC2:TRAP_HANDLER: 0
; COMPUTE_PGM_RSRC2:TGID_X_EN: 1
; COMPUTE_PGM_RSRC2:TGID_Y_EN: 0
; COMPUTE_PGM_RSRC2:TGID_Z_EN: 0
; COMPUTE_PGM_RSRC2:TIDIG_COMP_CNT: 0
; COMPUTE_PGM_RSRC3_GFX90A:ACCUM_OFFSET: 63
; COMPUTE_PGM_RSRC3_GFX90A:TG_SPLIT: 0
	.text
	.p2alignl 6, 3212836864
	.fill 256, 4, 3212836864
	.type	__hip_cuid_bfa84f025d790ed1,@object ; @__hip_cuid_bfa84f025d790ed1
	.section	.bss,"aw",@nobits
	.globl	__hip_cuid_bfa84f025d790ed1
__hip_cuid_bfa84f025d790ed1:
	.byte	0                               ; 0x0
	.size	__hip_cuid_bfa84f025d790ed1, 1

	.ident	"AMD clang version 19.0.0git (https://github.com/RadeonOpenCompute/llvm-project roc-6.4.0 25133 c7fe45cf4b819c5991fe208aaa96edf142730f1d)"
	.section	".note.GNU-stack","",@progbits
	.addrsig
	.addrsig_sym __hip_cuid_bfa84f025d790ed1
	.amdgpu_metadata
---
amdhsa.kernels:
  - .agpr_count:     60
    .args:
      - .actual_access:  read_only
        .address_space:  global
        .offset:         0
        .size:           8
        .value_kind:     global_buffer
      - .actual_access:  read_only
        .address_space:  global
        .offset:         8
        .size:           8
        .value_kind:     global_buffer
      - .actual_access:  read_only
        .address_space:  global
        .offset:         16
        .size:           8
        .value_kind:     global_buffer
      - .actual_access:  read_only
        .address_space:  global
        .offset:         24
        .size:           8
        .value_kind:     global_buffer
      - .actual_access:  read_only
        .address_space:  global
        .offset:         32
        .size:           8
        .value_kind:     global_buffer
      - .offset:         40
        .size:           8
        .value_kind:     by_value
      - .address_space:  global
        .offset:         48
        .size:           8
        .value_kind:     global_buffer
      - .address_space:  global
        .offset:         56
        .size:           8
        .value_kind:     global_buffer
      - .address_space:  global
        .offset:         64
        .size:           8
        .value_kind:     global_buffer
      - .address_space:  global
        .offset:         72
        .size:           8
        .value_kind:     global_buffer
      - .offset:         80
        .size:           4
        .value_kind:     by_value
      - .address_space:  global
        .offset:         88
        .size:           8
        .value_kind:     global_buffer
      - .address_space:  global
        .offset:         96
        .size:           8
        .value_kind:     global_buffer
    .group_segment_fixed_size: 12240
    .kernarg_segment_align: 8
    .kernarg_segment_size: 104
    .language:       OpenCL C
    .language_version:
      - 2
      - 0
    .max_flat_workgroup_size: 51
    .name:           bluestein_single_back_len255_dim1_dp_op_CI_CI
    .private_segment_fixed_size: 0
    .sgpr_count:     66
    .sgpr_spill_count: 0
    .symbol:         bluestein_single_back_len255_dim1_dp_op_CI_CI.kd
    .uniform_work_group_size: 1
    .uses_dynamic_stack: false
    .vgpr_count:     316
    .vgpr_spill_count: 0
    .wavefront_size: 64
amdhsa.target:   amdgcn-amd-amdhsa--gfx950
amdhsa.version:
  - 1
  - 2
...

	.end_amdgpu_metadata
